;; amdgpu-corpus repo=pytorch/pytorch kind=compiled arch=gfx906 opt=O3
	.amdgcn_target "amdgcn-amd-amdhsa--gfx906"
	.amdhsa_code_object_version 6
	.section	.text._ZN2at6native12_GLOBAL__N_130avg_pool2d_out_cuda_frame_nhwcIddEEviPKT_llliiiiiiiiPS3_ibb,"axG",@progbits,_ZN2at6native12_GLOBAL__N_130avg_pool2d_out_cuda_frame_nhwcIddEEviPKT_llliiiiiiiiPS3_ibb,comdat
	.globl	_ZN2at6native12_GLOBAL__N_130avg_pool2d_out_cuda_frame_nhwcIddEEviPKT_llliiiiiiiiPS3_ibb ; -- Begin function _ZN2at6native12_GLOBAL__N_130avg_pool2d_out_cuda_frame_nhwcIddEEviPKT_llliiiiiiiiPS3_ibb
	.p2align	8
	.type	_ZN2at6native12_GLOBAL__N_130avg_pool2d_out_cuda_frame_nhwcIddEEviPKT_llliiiiiiiiPS3_ibb,@function
_ZN2at6native12_GLOBAL__N_130avg_pool2d_out_cuda_frame_nhwcIddEEviPKT_llliiiiiiiiPS3_ibb: ; @_ZN2at6native12_GLOBAL__N_130avg_pool2d_out_cuda_frame_nhwcIddEEviPKT_llliiiiiiiiPS3_ibb
; %bb.0:
	s_load_dword s28, s[4:5], 0x0
	s_load_dword s0, s[4:5], 0x64
	v_mov_b32_e32 v2, 0
	v_mov_b32_e32 v1, v2
	;; [unrolled: 1-line block ×3, first 2 shown]
	s_waitcnt lgkmcnt(0)
	s_ashr_i32 s29, s28, 31
	s_add_u32 s30, s4, 0x58
	s_addc_u32 s31, s5, 0
	s_and_b32 s7, s0, 0xffff
	v_mad_u64_u32 v[0:1], s[0:1], s7, v3, v[0:1]
	v_cmp_gt_i64_e32 vcc, s[28:29], v[0:1]
	s_and_saveexec_b64 s[0:1], vcc
	s_cbranch_execz .LBB0_21
; %bb.1:
	s_load_dwordx4 s[24:27], s[4:5], 0x48
	s_load_dword s2, s[4:5], 0x54
	s_load_dwordx8 s[8:15], s[4:5], 0x8
	s_load_dwordx8 s[16:23], s[4:5], 0x28
	s_mov_b64 s[36:37], 0
	s_load_dword s4, s[30:31], 0x0
	s_waitcnt lgkmcnt(0)
	s_bitcmp1_b32 s27, 0
	s_cselect_b64 s[0:1], -1, 0
	s_bitcmp1_b32 s2, 8
	s_mul_hi_u32 s5, s14, s12
	s_mul_i32 s48, s4, s7
	s_mul_i32 s4, s14, s13
	s_cselect_b64 s[2:3], -1, 0
	s_add_i32 s4, s5, s4
	s_mul_i32 s5, s15, s12
	s_add_i32 s5, s4, s5
	s_mul_i32 s4, s14, s12
	s_lshl_b64 s[6:7], s[4:5], 3
	s_mul_i32 s4, s14, s11
	s_mul_hi_u32 s5, s14, s10
	s_add_i32 s4, s5, s4
	s_mul_i32 s5, s15, s10
	s_add_i32 s5, s4, s5
	s_mul_i32 s4, s14, s10
	s_ashr_i32 s27, s17, 31
	s_ashr_i32 s33, s16, 31
	s_add_i32 s46, s22, s12
	s_add_i32 s47, s23, s14
	s_lshl_b64 s[30:31], s[4:5], 3
	s_lshl_b64 s[34:35], s[10:11], 3
	s_ashr_i32 s38, s11, 31
	s_branch .LBB0_3
.LBB0_2:                                ;   in Loop: Header=BB0_3 Depth=1
	s_or_b64 exec, exec, s[40:41]
	v_add_co_u32_e32 v0, vcc, s48, v0
	v_addc_co_u32_e32 v1, vcc, 0, v1, vcc
	v_cmp_le_i64_e32 vcc, s[28:29], v[0:1]
	v_mov_b32_e32 v4, s25
	v_add_co_u32_e64 v3, s[4:5], s24, v6
	v_addc_co_u32_e64 v4, s[4:5], v4, v7, s[4:5]
	s_or_b64 s[36:37], vcc, s[36:37]
	global_store_dwordx2 v[3:4], v[12:13], off
	s_andn2_b64 exec, exec, s[36:37]
	s_cbranch_execz .LBB0_21
.LBB0_3:                                ; =>This Loop Header: Depth=1
                                        ;     Child Loop BB0_17 Depth 2
                                        ;       Child Loop BB0_18 Depth 3
	v_or_b32_e32 v3, s11, v1
	v_cmp_ne_u64_e32 vcc, 0, v[2:3]
                                        ; implicit-def: $vgpr4_vgpr5
	s_and_saveexec_b64 s[4:5], vcc
	s_xor_b64 s[40:41], exec, s[4:5]
	s_cbranch_execz .LBB0_5
; %bb.4:                                ;   in Loop: Header=BB0_3 Depth=1
	s_add_u32 s4, s10, s38
	s_mov_b32 s39, s38
	s_addc_u32 s5, s11, s38
	s_xor_b64 s[42:43], s[4:5], s[38:39]
	v_cvt_f32_u32_e32 v3, s42
	v_cvt_f32_u32_e32 v4, s43
	s_sub_u32 s13, 0, s42
	s_subb_u32 s39, 0, s43
	v_ashrrev_i32_e32 v7, 31, v1
	v_mac_f32_e32 v3, 0x4f800000, v4
	v_rcp_f32_e32 v3, v3
	v_mul_f32_e32 v3, 0x5f7ffffc, v3
	v_mul_f32_e32 v4, 0x2f800000, v3
	v_trunc_f32_e32 v4, v4
	v_mac_f32_e32 v3, 0xcf800000, v4
	v_cvt_u32_f32_e32 v4, v4
	v_cvt_u32_f32_e32 v3, v3
	v_readfirstlane_b32 s44, v4
	v_readfirstlane_b32 s4, v3
	s_mul_i32 s5, s13, s44
	s_mul_hi_u32 s49, s13, s4
	s_mul_i32 s45, s39, s4
	s_add_i32 s5, s49, s5
	s_add_i32 s5, s5, s45
	s_mul_i32 s50, s13, s4
	s_mul_i32 s49, s4, s5
	s_mul_hi_u32 s51, s4, s50
	s_mul_hi_u32 s45, s4, s5
	s_add_u32 s49, s51, s49
	s_addc_u32 s45, 0, s45
	s_mul_hi_u32 s52, s44, s50
	s_mul_i32 s50, s44, s50
	s_add_u32 s49, s49, s50
	s_mul_hi_u32 s51, s44, s5
	s_addc_u32 s45, s45, s52
	s_addc_u32 s49, s51, 0
	s_mul_i32 s5, s44, s5
	s_add_u32 s5, s45, s5
	s_addc_u32 s45, 0, s49
	s_add_u32 s49, s4, s5
	s_cselect_b64 s[4:5], -1, 0
	s_cmp_lg_u64 s[4:5], 0
	s_addc_u32 s44, s44, s45
	s_mul_i32 s4, s13, s44
	s_mul_hi_u32 s5, s13, s49
	s_add_i32 s4, s5, s4
	s_mul_i32 s39, s39, s49
	s_add_i32 s4, s4, s39
	s_mul_i32 s13, s13, s49
	s_mul_hi_u32 s39, s44, s13
	s_mul_i32 s45, s44, s13
	s_mul_i32 s51, s49, s4
	s_mul_hi_u32 s13, s49, s13
	s_mul_hi_u32 s50, s49, s4
	s_add_u32 s13, s13, s51
	s_addc_u32 s50, 0, s50
	s_add_u32 s13, s13, s45
	s_mul_hi_u32 s5, s44, s4
	s_addc_u32 s13, s50, s39
	s_addc_u32 s5, s5, 0
	s_mul_i32 s4, s44, s4
	s_add_u32 s4, s13, s4
	s_addc_u32 s13, 0, s5
	s_add_u32 s39, s49, s4
	s_cselect_b64 s[4:5], -1, 0
	s_cmp_lg_u64 s[4:5], 0
	v_add_co_u32_e32 v3, vcc, v0, v7
	s_addc_u32 s13, s44, s13
	v_xor_b32_e32 v8, v3, v7
	v_mad_u64_u32 v[3:4], s[4:5], v8, s13, 0
	v_mul_hi_u32 v6, v8, s39
	v_addc_co_u32_e32 v5, vcc, v1, v7, vcc
	v_xor_b32_e32 v9, v5, v7
	v_add_co_u32_e32 v10, vcc, v6, v3
	v_addc_co_u32_e32 v11, vcc, 0, v4, vcc
	v_mad_u64_u32 v[3:4], s[4:5], v9, s39, 0
	v_mad_u64_u32 v[5:6], s[4:5], v9, s13, 0
	v_add_co_u32_e32 v3, vcc, v10, v3
	v_addc_co_u32_e32 v3, vcc, v11, v4, vcc
	v_addc_co_u32_e32 v4, vcc, 0, v6, vcc
	v_add_co_u32_e32 v5, vcc, v3, v5
	v_addc_co_u32_e32 v6, vcc, 0, v4, vcc
	v_mul_lo_u32 v10, s43, v5
	v_mul_lo_u32 v11, s42, v6
	v_mad_u64_u32 v[3:4], s[4:5], s42, v5, 0
	v_add3_u32 v4, v4, v11, v10
	v_sub_u32_e32 v10, v9, v4
	v_mov_b32_e32 v11, s43
	v_sub_co_u32_e32 v3, vcc, v8, v3
	v_subb_co_u32_e64 v8, s[4:5], v10, v11, vcc
	v_subrev_co_u32_e64 v10, s[4:5], s42, v3
	v_subbrev_co_u32_e64 v8, s[4:5], 0, v8, s[4:5]
	v_cmp_le_u32_e64 s[4:5], s43, v8
	v_cndmask_b32_e64 v11, 0, -1, s[4:5]
	v_cmp_le_u32_e64 s[4:5], s42, v10
	v_cndmask_b32_e64 v10, 0, -1, s[4:5]
	v_cmp_eq_u32_e64 s[4:5], s43, v8
	v_cndmask_b32_e64 v8, v11, v10, s[4:5]
	v_add_co_u32_e64 v10, s[4:5], 2, v5
	v_subb_co_u32_e32 v4, vcc, v9, v4, vcc
	v_addc_co_u32_e64 v11, s[4:5], 0, v6, s[4:5]
	v_cmp_le_u32_e32 vcc, s43, v4
	v_add_co_u32_e64 v12, s[4:5], 1, v5
	v_cndmask_b32_e64 v9, 0, -1, vcc
	v_cmp_le_u32_e32 vcc, s42, v3
	v_addc_co_u32_e64 v13, s[4:5], 0, v6, s[4:5]
	v_cndmask_b32_e64 v3, 0, -1, vcc
	v_cmp_eq_u32_e32 vcc, s43, v4
	v_cmp_ne_u32_e64 s[4:5], 0, v8
	v_cndmask_b32_e32 v3, v9, v3, vcc
	v_cmp_ne_u32_e32 vcc, 0, v3
	v_cndmask_b32_e64 v4, v12, v10, s[4:5]
	v_cndmask_b32_e64 v8, v13, v11, s[4:5]
	v_cndmask_b32_e32 v4, v5, v4, vcc
	v_xor_b32_e32 v5, s38, v7
	v_cndmask_b32_e32 v3, v6, v8, vcc
	v_xor_b32_e32 v4, v4, v5
	v_xor_b32_e32 v3, v3, v5
	v_sub_co_u32_e32 v4, vcc, v4, v5
	v_subb_co_u32_e32 v5, vcc, v3, v5, vcc
.LBB0_5:                                ;   in Loop: Header=BB0_3 Depth=1
	s_andn2_saveexec_b64 s[4:5], s[40:41]
	s_cbranch_execz .LBB0_7
; %bb.6:                                ;   in Loop: Header=BB0_3 Depth=1
	v_cvt_f32_u32_e32 v3, s10
	s_sub_i32 s13, 0, s10
	v_rcp_iflag_f32_e32 v3, v3
	v_mul_f32_e32 v3, 0x4f7ffffe, v3
	v_cvt_u32_f32_e32 v3, v3
	v_mul_lo_u32 v4, s13, v3
	v_mul_hi_u32 v4, v3, v4
	v_add_u32_e32 v3, v3, v4
	v_mul_hi_u32 v3, v0, v3
	v_mul_lo_u32 v4, v3, s10
	v_add_u32_e32 v5, 1, v3
	v_sub_u32_e32 v4, v0, v4
	v_subrev_u32_e32 v6, s10, v4
	v_cmp_le_u32_e32 vcc, s10, v4
	v_cndmask_b32_e32 v4, v4, v6, vcc
	v_cndmask_b32_e32 v3, v3, v5, vcc
	v_add_u32_e32 v5, 1, v3
	v_cmp_le_u32_e32 vcc, s10, v4
	v_cndmask_b32_e32 v4, v3, v5, vcc
	v_mov_b32_e32 v5, v2
.LBB0_7:                                ;   in Loop: Header=BB0_3 Depth=1
	s_or_b64 exec, exec, s[4:5]
	v_or_b32_e32 v3, s27, v5
	v_cmp_ne_u64_e32 vcc, 0, v[2:3]
                                        ; implicit-def: $vgpr6_vgpr7
	s_and_saveexec_b64 s[4:5], vcc
	s_xor_b64 s[40:41], exec, s[4:5]
	s_cbranch_execz .LBB0_9
; %bb.8:                                ;   in Loop: Header=BB0_3 Depth=1
	s_ashr_i32 s42, s27, 31
	s_add_u32 s4, s17, s42
	s_mov_b32 s43, s42
	s_addc_u32 s5, s27, s42
	s_xor_b64 s[44:45], s[4:5], s[42:43]
	v_cvt_f32_u32_e32 v3, s44
	v_cvt_f32_u32_e32 v6, s45
	s_sub_u32 s13, 0, s44
	s_subb_u32 s39, 0, s45
	v_mac_f32_e32 v3, 0x4f800000, v6
	v_rcp_f32_e32 v3, v3
	v_mul_f32_e32 v3, 0x5f7ffffc, v3
	v_mul_f32_e32 v6, 0x2f800000, v3
	v_trunc_f32_e32 v6, v6
	v_mac_f32_e32 v3, 0xcf800000, v6
	v_cvt_u32_f32_e32 v6, v6
	v_cvt_u32_f32_e32 v3, v3
	v_readfirstlane_b32 s43, v6
	v_readfirstlane_b32 s4, v3
	s_mul_i32 s5, s13, s43
	s_mul_hi_u32 s50, s13, s4
	s_mul_i32 s49, s39, s4
	s_add_i32 s5, s50, s5
	s_add_i32 s5, s5, s49
	s_mul_i32 s51, s13, s4
	s_mul_i32 s50, s4, s5
	s_mul_hi_u32 s52, s4, s51
	s_mul_hi_u32 s49, s4, s5
	s_add_u32 s50, s52, s50
	s_addc_u32 s49, 0, s49
	s_mul_hi_u32 s53, s43, s51
	s_mul_i32 s51, s43, s51
	s_add_u32 s50, s50, s51
	s_mul_hi_u32 s52, s43, s5
	s_addc_u32 s49, s49, s53
	s_addc_u32 s50, s52, 0
	s_mul_i32 s5, s43, s5
	s_add_u32 s5, s49, s5
	s_addc_u32 s49, 0, s50
	s_add_u32 s50, s4, s5
	s_cselect_b64 s[4:5], -1, 0
	s_cmp_lg_u64 s[4:5], 0
	s_addc_u32 s43, s43, s49
	s_mul_i32 s4, s13, s43
	s_mul_hi_u32 s5, s13, s50
	s_add_i32 s4, s5, s4
	s_mul_i32 s39, s39, s50
	s_add_i32 s4, s4, s39
	s_mul_i32 s13, s13, s50
	s_mul_hi_u32 s39, s43, s13
	s_mul_i32 s49, s43, s13
	s_mul_i32 s52, s50, s4
	s_mul_hi_u32 s13, s50, s13
	s_mul_hi_u32 s51, s50, s4
	s_add_u32 s13, s13, s52
	s_addc_u32 s51, 0, s51
	s_add_u32 s13, s13, s49
	s_mul_hi_u32 s5, s43, s4
	s_addc_u32 s13, s51, s39
	s_addc_u32 s5, s5, 0
	s_mul_i32 s4, s43, s4
	s_add_u32 s4, s13, s4
	s_addc_u32 s13, 0, s5
	s_add_u32 s39, s50, s4
	s_cselect_b64 s[4:5], -1, 0
	v_ashrrev_i32_e32 v3, 31, v5
	s_cmp_lg_u64 s[4:5], 0
	v_add_co_u32_e32 v6, vcc, v4, v3
	s_addc_u32 s13, s43, s13
	v_xor_b32_e32 v10, v6, v3
	v_mad_u64_u32 v[6:7], s[4:5], v10, s13, 0
	v_mul_hi_u32 v9, v10, s39
	v_addc_co_u32_e32 v8, vcc, v5, v3, vcc
	v_xor_b32_e32 v11, v8, v3
	v_add_co_u32_e32 v12, vcc, v9, v6
	v_addc_co_u32_e32 v13, vcc, 0, v7, vcc
	v_mad_u64_u32 v[6:7], s[4:5], v11, s39, 0
	v_mad_u64_u32 v[8:9], s[4:5], v11, s13, 0
	v_add_co_u32_e32 v6, vcc, v12, v6
	v_addc_co_u32_e32 v6, vcc, v13, v7, vcc
	v_addc_co_u32_e32 v7, vcc, 0, v9, vcc
	v_add_co_u32_e32 v8, vcc, v6, v8
	v_addc_co_u32_e32 v9, vcc, 0, v7, vcc
	v_mul_lo_u32 v12, s45, v8
	v_mul_lo_u32 v13, s44, v9
	v_mad_u64_u32 v[6:7], s[4:5], s44, v8, 0
	v_xor_b32_e32 v3, s42, v3
	v_add3_u32 v7, v7, v13, v12
	v_sub_u32_e32 v12, v11, v7
	v_mov_b32_e32 v13, s45
	v_sub_co_u32_e32 v6, vcc, v10, v6
	v_subb_co_u32_e64 v10, s[4:5], v12, v13, vcc
	v_subrev_co_u32_e64 v12, s[4:5], s44, v6
	v_subbrev_co_u32_e64 v10, s[4:5], 0, v10, s[4:5]
	v_cmp_le_u32_e64 s[4:5], s45, v10
	v_cndmask_b32_e64 v13, 0, -1, s[4:5]
	v_cmp_le_u32_e64 s[4:5], s44, v12
	v_cndmask_b32_e64 v12, 0, -1, s[4:5]
	v_cmp_eq_u32_e64 s[4:5], s45, v10
	v_cndmask_b32_e64 v10, v13, v12, s[4:5]
	v_add_co_u32_e64 v12, s[4:5], 2, v8
	v_subb_co_u32_e32 v7, vcc, v11, v7, vcc
	v_addc_co_u32_e64 v13, s[4:5], 0, v9, s[4:5]
	v_cmp_le_u32_e32 vcc, s45, v7
	v_add_co_u32_e64 v14, s[4:5], 1, v8
	v_cndmask_b32_e64 v11, 0, -1, vcc
	v_cmp_le_u32_e32 vcc, s44, v6
	v_addc_co_u32_e64 v15, s[4:5], 0, v9, s[4:5]
	v_cndmask_b32_e64 v6, 0, -1, vcc
	v_cmp_eq_u32_e32 vcc, s45, v7
	v_cmp_ne_u32_e64 s[4:5], 0, v10
	v_cndmask_b32_e32 v6, v11, v6, vcc
	v_cndmask_b32_e64 v10, v15, v13, s[4:5]
	v_cmp_ne_u32_e32 vcc, 0, v6
	v_cndmask_b32_e64 v7, v14, v12, s[4:5]
	v_cndmask_b32_e32 v6, v9, v10, vcc
	v_cndmask_b32_e32 v7, v8, v7, vcc
	v_xor_b32_e32 v8, v6, v3
	v_xor_b32_e32 v6, v7, v3
	v_sub_co_u32_e32 v6, vcc, v6, v3
	v_subb_co_u32_e32 v7, vcc, v8, v3, vcc
.LBB0_9:                                ;   in Loop: Header=BB0_3 Depth=1
	s_andn2_saveexec_b64 s[4:5], s[40:41]
	s_cbranch_execz .LBB0_11
; %bb.10:                               ;   in Loop: Header=BB0_3 Depth=1
	v_cvt_f32_u32_e32 v3, s17
	s_sub_i32 s13, 0, s17
	v_rcp_iflag_f32_e32 v3, v3
	v_mul_f32_e32 v3, 0x4f7ffffe, v3
	v_cvt_u32_f32_e32 v3, v3
	v_mul_lo_u32 v6, s13, v3
	v_mul_hi_u32 v6, v3, v6
	v_add_u32_e32 v3, v3, v6
	v_mul_hi_u32 v3, v4, v3
	v_mul_lo_u32 v6, v3, s17
	v_add_u32_e32 v7, 1, v3
	v_sub_u32_e32 v6, v4, v6
	v_subrev_u32_e32 v8, s17, v6
	v_cmp_le_u32_e32 vcc, s17, v6
	v_cndmask_b32_e32 v6, v6, v8, vcc
	v_cndmask_b32_e32 v3, v3, v7, vcc
	v_add_u32_e32 v7, 1, v3
	v_cmp_le_u32_e32 vcc, s17, v6
	v_cndmask_b32_e32 v6, v3, v7, vcc
	v_mov_b32_e32 v7, v2
.LBB0_11:                               ;   in Loop: Header=BB0_3 Depth=1
	s_or_b64 exec, exec, s[4:5]
	v_or_b32_e32 v3, s33, v7
	v_cmp_ne_u64_e32 vcc, 0, v[2:3]
                                        ; implicit-def: $vgpr10_vgpr11
	s_and_saveexec_b64 s[4:5], vcc
	s_xor_b64 s[40:41], exec, s[4:5]
	s_cbranch_execz .LBB0_13
; %bb.12:                               ;   in Loop: Header=BB0_3 Depth=1
	s_ashr_i32 s42, s33, 31
	s_add_u32 s4, s16, s42
	s_mov_b32 s43, s42
	s_addc_u32 s5, s33, s42
	s_xor_b64 s[44:45], s[4:5], s[42:43]
	v_cvt_f32_u32_e32 v3, s44
	v_cvt_f32_u32_e32 v8, s45
	s_sub_u32 s13, 0, s44
	s_subb_u32 s39, 0, s45
	v_mac_f32_e32 v3, 0x4f800000, v8
	v_rcp_f32_e32 v3, v3
	v_mul_f32_e32 v3, 0x5f7ffffc, v3
	v_mul_f32_e32 v8, 0x2f800000, v3
	v_trunc_f32_e32 v8, v8
	v_mac_f32_e32 v3, 0xcf800000, v8
	v_cvt_u32_f32_e32 v8, v8
	v_cvt_u32_f32_e32 v3, v3
	v_readfirstlane_b32 s43, v8
	v_readfirstlane_b32 s4, v3
	s_mul_i32 s5, s13, s43
	s_mul_hi_u32 s50, s13, s4
	s_mul_i32 s49, s39, s4
	s_add_i32 s5, s50, s5
	s_add_i32 s5, s5, s49
	s_mul_i32 s51, s13, s4
	s_mul_i32 s50, s4, s5
	s_mul_hi_u32 s52, s4, s51
	s_mul_hi_u32 s49, s4, s5
	s_add_u32 s50, s52, s50
	s_addc_u32 s49, 0, s49
	s_mul_hi_u32 s53, s43, s51
	s_mul_i32 s51, s43, s51
	s_add_u32 s50, s50, s51
	s_mul_hi_u32 s52, s43, s5
	s_addc_u32 s49, s49, s53
	s_addc_u32 s50, s52, 0
	s_mul_i32 s5, s43, s5
	s_add_u32 s5, s49, s5
	s_addc_u32 s49, 0, s50
	s_add_u32 s50, s4, s5
	s_cselect_b64 s[4:5], -1, 0
	s_cmp_lg_u64 s[4:5], 0
	s_addc_u32 s43, s43, s49
	s_mul_i32 s4, s13, s43
	s_mul_hi_u32 s5, s13, s50
	s_add_i32 s4, s5, s4
	s_mul_i32 s39, s39, s50
	s_add_i32 s4, s4, s39
	s_mul_i32 s13, s13, s50
	s_mul_hi_u32 s39, s43, s13
	s_mul_i32 s49, s43, s13
	s_mul_i32 s52, s50, s4
	s_mul_hi_u32 s13, s50, s13
	s_mul_hi_u32 s51, s50, s4
	s_add_u32 s13, s13, s52
	s_addc_u32 s51, 0, s51
	s_add_u32 s13, s13, s49
	s_mul_hi_u32 s5, s43, s4
	s_addc_u32 s13, s51, s39
	s_addc_u32 s5, s5, 0
	s_mul_i32 s4, s43, s4
	s_add_u32 s4, s13, s4
	s_addc_u32 s13, 0, s5
	s_add_u32 s39, s50, s4
	s_cselect_b64 s[4:5], -1, 0
	v_ashrrev_i32_e32 v3, 31, v7
	s_cmp_lg_u64 s[4:5], 0
	v_add_co_u32_e32 v8, vcc, v6, v3
	s_addc_u32 s13, s43, s13
	v_xor_b32_e32 v11, v8, v3
	v_addc_co_u32_e32 v9, vcc, v7, v3, vcc
	v_mad_u64_u32 v[7:8], s[4:5], v11, s13, 0
	v_mul_hi_u32 v10, v11, s39
	v_xor_b32_e32 v12, v9, v3
	v_xor_b32_e32 v3, s42, v3
	v_add_co_u32_e32 v13, vcc, v10, v7
	v_addc_co_u32_e32 v14, vcc, 0, v8, vcc
	v_mad_u64_u32 v[7:8], s[4:5], v12, s39, 0
	v_mad_u64_u32 v[9:10], s[4:5], v12, s13, 0
	v_add_co_u32_e32 v7, vcc, v13, v7
	v_addc_co_u32_e32 v7, vcc, v14, v8, vcc
	v_addc_co_u32_e32 v8, vcc, 0, v10, vcc
	v_add_co_u32_e32 v9, vcc, v7, v9
	v_addc_co_u32_e32 v10, vcc, 0, v8, vcc
	v_mul_lo_u32 v13, s45, v9
	v_mul_lo_u32 v14, s44, v10
	v_mad_u64_u32 v[7:8], s[4:5], s44, v9, 0
	v_add3_u32 v8, v8, v14, v13
	v_sub_u32_e32 v13, v12, v8
	v_mov_b32_e32 v14, s45
	v_sub_co_u32_e32 v7, vcc, v11, v7
	v_subb_co_u32_e64 v11, s[4:5], v13, v14, vcc
	v_subrev_co_u32_e64 v13, s[4:5], s44, v7
	v_subbrev_co_u32_e64 v11, s[4:5], 0, v11, s[4:5]
	v_cmp_le_u32_e64 s[4:5], s45, v11
	v_cndmask_b32_e64 v14, 0, -1, s[4:5]
	v_cmp_le_u32_e64 s[4:5], s44, v13
	v_cndmask_b32_e64 v13, 0, -1, s[4:5]
	v_cmp_eq_u32_e64 s[4:5], s45, v11
	v_cndmask_b32_e64 v11, v14, v13, s[4:5]
	v_add_co_u32_e64 v13, s[4:5], 2, v9
	v_subb_co_u32_e32 v8, vcc, v12, v8, vcc
	v_addc_co_u32_e64 v14, s[4:5], 0, v10, s[4:5]
	v_cmp_le_u32_e32 vcc, s45, v8
	v_add_co_u32_e64 v15, s[4:5], 1, v9
	v_cndmask_b32_e64 v12, 0, -1, vcc
	v_cmp_le_u32_e32 vcc, s44, v7
	v_addc_co_u32_e64 v16, s[4:5], 0, v10, s[4:5]
	v_cndmask_b32_e64 v7, 0, -1, vcc
	v_cmp_eq_u32_e32 vcc, s45, v8
	v_cmp_ne_u32_e64 s[4:5], 0, v11
	v_cndmask_b32_e32 v7, v12, v7, vcc
	v_cmp_ne_u32_e32 vcc, 0, v7
	v_cndmask_b32_e64 v8, v15, v13, s[4:5]
	v_cndmask_b32_e64 v11, v16, v14, s[4:5]
	v_cndmask_b32_e32 v8, v9, v8, vcc
	v_cndmask_b32_e32 v7, v10, v11, vcc
	v_xor_b32_e32 v8, v8, v3
	v_xor_b32_e32 v7, v7, v3
	v_sub_co_u32_e32 v10, vcc, v8, v3
	v_subb_co_u32_e32 v11, vcc, v7, v3, vcc
.LBB0_13:                               ;   in Loop: Header=BB0_3 Depth=1
	s_andn2_saveexec_b64 s[4:5], s[40:41]
	s_cbranch_execz .LBB0_15
; %bb.14:                               ;   in Loop: Header=BB0_3 Depth=1
	v_cvt_f32_u32_e32 v3, s16
	s_sub_i32 s13, 0, s16
	v_mov_b32_e32 v11, v2
	v_rcp_iflag_f32_e32 v3, v3
	v_mul_f32_e32 v3, 0x4f7ffffe, v3
	v_cvt_u32_f32_e32 v3, v3
	v_mul_lo_u32 v7, s13, v3
	v_mul_hi_u32 v7, v3, v7
	v_add_u32_e32 v3, v3, v7
	v_mul_hi_u32 v3, v6, v3
	v_mul_lo_u32 v7, v3, s16
	v_add_u32_e32 v8, 1, v3
	v_sub_u32_e32 v7, v6, v7
	v_subrev_u32_e32 v9, s16, v7
	v_cmp_le_u32_e32 vcc, s16, v7
	v_cndmask_b32_e32 v7, v7, v9, vcc
	v_cndmask_b32_e32 v3, v3, v8, vcc
	v_add_u32_e32 v8, 1, v3
	v_cmp_le_u32_e32 vcc, s16, v7
	v_cndmask_b32_e32 v10, v3, v8, vcc
.LBB0_15:                               ;   in Loop: Header=BB0_3 Depth=1
	s_or_b64 exec, exec, s[4:5]
	v_mul_lo_u32 v3, v6, s17
	v_mul_lo_u32 v7, v10, s16
	v_mov_b32_e32 v12, 0
	v_mov_b32_e32 v13, 0
	v_sub_u32_e32 v3, v4, v3
	v_sub_u32_e32 v6, v6, v7
	v_mul_lo_u32 v6, s20, v6
	v_mul_lo_u32 v3, s21, v3
	v_subrev_u32_e32 v14, s22, v6
	v_subrev_u32_e32 v15, s23, v3
	v_add_u32_e32 v3, s18, v14
	v_add_u32_e32 v6, s19, v15
	v_min_i32_e32 v17, s46, v3
	v_min_i32_e32 v18, s47, v6
	v_max_i32_e32 v16, 0, v14
	v_max_i32_e32 v8, 0, v15
	v_min_i32_e32 v19, s12, v17
	v_min_i32_e32 v20, s14, v18
	v_cmp_gt_i32_e32 vcc, v19, v16
	v_cmp_gt_i32_e64 s[4:5], v20, v8
	v_lshlrev_b64 v[6:7], 3, v[0:1]
	s_and_b64 s[4:5], s[4:5], vcc
	s_and_saveexec_b64 s[40:41], s[4:5]
	s_cbranch_execz .LBB0_2
; %bb.16:                               ;   in Loop: Header=BB0_3 Depth=1
	v_mov_b32_e32 v9, v2
	v_mad_u64_u32 v[12:13], s[4:5], s14, v16, v[8:9]
	v_mul_lo_u32 v23, s7, v10
	s_mov_b64 s[42:43], 0
	v_mov_b32_e32 v3, v13
	v_mad_u64_u32 v[21:22], s[4:5], s15, v16, v[3:4]
	v_mul_lo_u32 v22, s6, v11
	v_lshlrev_b64 v[3:4], 3, v[4:5]
	v_mov_b32_e32 v13, v21
	v_lshlrev_b64 v[11:12], 3, v[12:13]
	v_mad_u64_u32 v[9:10], s[4:5], s6, v10, v[11:12]
	v_add3_u32 v5, v23, v10, v22
	v_sub_co_u32_e32 v3, vcc, v9, v3
	v_subb_co_u32_e32 v5, vcc, v5, v4, vcc
	v_mul_lo_u32 v9, s11, v3
	v_mad_u64_u32 v[3:4], s[4:5], s10, v3, v[6:7]
	v_mul_lo_u32 v5, s10, v5
	v_mov_b32_e32 v10, s9
	v_add3_u32 v4, v9, v4, v5
	v_add_co_u32_e32 v9, vcc, s8, v3
	v_addc_co_u32_e32 v10, vcc, v10, v4, vcc
	v_mov_b32_e32 v3, 0
	v_mov_b32_e32 v4, 0
	;; [unrolled: 1-line block ×3, first 2 shown]
.LBB0_17:                               ;   Parent Loop BB0_3 Depth=1
                                        ; =>  This Loop Header: Depth=2
                                        ;       Child Loop BB0_18 Depth 3
	v_mov_b32_e32 v12, v10
	s_mov_b64 s[44:45], 0
	v_mov_b32_e32 v11, v9
	v_mov_b32_e32 v13, v8
.LBB0_18:                               ;   Parent Loop BB0_3 Depth=1
                                        ;     Parent Loop BB0_17 Depth=2
                                        ; =>    This Inner Loop Header: Depth=3
	global_load_dwordx2 v[21:22], v[11:12], off
	v_add_u32_e32 v13, 1, v13
	v_add_co_u32_e32 v11, vcc, s34, v11
	v_cmp_ge_i32_e64 s[4:5], v13, v20
	s_or_b64 s[44:45], s[4:5], s[44:45]
	s_waitcnt vmcnt(0)
	v_add_f64 v[3:4], v[3:4], v[21:22]
	v_mov_b32_e32 v21, s35
	v_addc_co_u32_e32 v12, vcc, v12, v21, vcc
	s_andn2_b64 exec, exec, s[44:45]
	s_cbranch_execnz .LBB0_18
; %bb.19:                               ;   in Loop: Header=BB0_17 Depth=2
	s_or_b64 exec, exec, s[44:45]
	v_add_u32_e32 v5, 1, v5
	v_cmp_ge_i32_e32 vcc, v5, v19
	v_mov_b32_e32 v11, s31
	s_or_b64 s[42:43], vcc, s[42:43]
	v_add_co_u32_e32 v9, vcc, s30, v9
	v_addc_co_u32_e32 v10, vcc, v10, v11, vcc
	s_andn2_b64 exec, exec, s[42:43]
	s_cbranch_execnz .LBB0_17
; %bb.20:                               ;   in Loop: Header=BB0_3 Depth=1
	s_or_b64 exec, exec, s[42:43]
	v_sub_u32_e32 v5, v17, v14
	v_sub_u32_e32 v9, v18, v15
	v_mul_lo_u32 v5, v5, v9
	v_sub_u32_e32 v9, v19, v16
	v_sub_u32_e32 v8, v20, v8
	v_mul_lo_u32 v8, v9, v8
	v_cndmask_b32_e64 v5, v8, v5, s[0:1]
	v_mov_b32_e32 v8, s26
	v_cndmask_b32_e64 v5, v5, v8, s[2:3]
	v_cvt_f64_i32_e32 v[8:9], v5
	v_div_scale_f64 v[10:11], s[4:5], v[8:9], v[8:9], v[3:4]
	v_div_scale_f64 v[16:17], vcc, v[3:4], v[8:9], v[3:4]
	v_rcp_f64_e32 v[12:13], v[10:11]
	v_fma_f64 v[14:15], -v[10:11], v[12:13], 1.0
	v_fma_f64 v[12:13], v[12:13], v[14:15], v[12:13]
	v_fma_f64 v[14:15], -v[10:11], v[12:13], 1.0
	v_fma_f64 v[12:13], v[12:13], v[14:15], v[12:13]
	v_mul_f64 v[14:15], v[16:17], v[12:13]
	v_fma_f64 v[10:11], -v[10:11], v[14:15], v[16:17]
	v_div_fmas_f64 v[10:11], v[10:11], v[12:13], v[14:15]
	v_div_fixup_f64 v[12:13], v[10:11], v[8:9], v[3:4]
	s_branch .LBB0_2
.LBB0_21:
	s_endpgm
	.section	.rodata,"a",@progbits
	.p2align	6, 0x0
	.amdhsa_kernel _ZN2at6native12_GLOBAL__N_130avg_pool2d_out_cuda_frame_nhwcIddEEviPKT_llliiiiiiiiPS3_ibb
		.amdhsa_group_segment_fixed_size 0
		.amdhsa_private_segment_fixed_size 0
		.amdhsa_kernarg_size 344
		.amdhsa_user_sgpr_count 6
		.amdhsa_user_sgpr_private_segment_buffer 1
		.amdhsa_user_sgpr_dispatch_ptr 0
		.amdhsa_user_sgpr_queue_ptr 0
		.amdhsa_user_sgpr_kernarg_segment_ptr 1
		.amdhsa_user_sgpr_dispatch_id 0
		.amdhsa_user_sgpr_flat_scratch_init 0
		.amdhsa_user_sgpr_private_segment_size 0
		.amdhsa_uses_dynamic_stack 0
		.amdhsa_system_sgpr_private_segment_wavefront_offset 0
		.amdhsa_system_sgpr_workgroup_id_x 1
		.amdhsa_system_sgpr_workgroup_id_y 0
		.amdhsa_system_sgpr_workgroup_id_z 0
		.amdhsa_system_sgpr_workgroup_info 0
		.amdhsa_system_vgpr_workitem_id 0
		.amdhsa_next_free_vgpr 24
		.amdhsa_next_free_sgpr 54
		.amdhsa_reserve_vcc 1
		.amdhsa_reserve_flat_scratch 0
		.amdhsa_float_round_mode_32 0
		.amdhsa_float_round_mode_16_64 0
		.amdhsa_float_denorm_mode_32 3
		.amdhsa_float_denorm_mode_16_64 3
		.amdhsa_dx10_clamp 1
		.amdhsa_ieee_mode 1
		.amdhsa_fp16_overflow 0
		.amdhsa_exception_fp_ieee_invalid_op 0
		.amdhsa_exception_fp_denorm_src 0
		.amdhsa_exception_fp_ieee_div_zero 0
		.amdhsa_exception_fp_ieee_overflow 0
		.amdhsa_exception_fp_ieee_underflow 0
		.amdhsa_exception_fp_ieee_inexact 0
		.amdhsa_exception_int_div_zero 0
	.end_amdhsa_kernel
	.section	.text._ZN2at6native12_GLOBAL__N_130avg_pool2d_out_cuda_frame_nhwcIddEEviPKT_llliiiiiiiiPS3_ibb,"axG",@progbits,_ZN2at6native12_GLOBAL__N_130avg_pool2d_out_cuda_frame_nhwcIddEEviPKT_llliiiiiiiiPS3_ibb,comdat
.Lfunc_end0:
	.size	_ZN2at6native12_GLOBAL__N_130avg_pool2d_out_cuda_frame_nhwcIddEEviPKT_llliiiiiiiiPS3_ibb, .Lfunc_end0-_ZN2at6native12_GLOBAL__N_130avg_pool2d_out_cuda_frame_nhwcIddEEviPKT_llliiiiiiiiPS3_ibb
                                        ; -- End function
	.set _ZN2at6native12_GLOBAL__N_130avg_pool2d_out_cuda_frame_nhwcIddEEviPKT_llliiiiiiiiPS3_ibb.num_vgpr, 24
	.set _ZN2at6native12_GLOBAL__N_130avg_pool2d_out_cuda_frame_nhwcIddEEviPKT_llliiiiiiiiPS3_ibb.num_agpr, 0
	.set _ZN2at6native12_GLOBAL__N_130avg_pool2d_out_cuda_frame_nhwcIddEEviPKT_llliiiiiiiiPS3_ibb.numbered_sgpr, 54
	.set _ZN2at6native12_GLOBAL__N_130avg_pool2d_out_cuda_frame_nhwcIddEEviPKT_llliiiiiiiiPS3_ibb.num_named_barrier, 0
	.set _ZN2at6native12_GLOBAL__N_130avg_pool2d_out_cuda_frame_nhwcIddEEviPKT_llliiiiiiiiPS3_ibb.private_seg_size, 0
	.set _ZN2at6native12_GLOBAL__N_130avg_pool2d_out_cuda_frame_nhwcIddEEviPKT_llliiiiiiiiPS3_ibb.uses_vcc, 1
	.set _ZN2at6native12_GLOBAL__N_130avg_pool2d_out_cuda_frame_nhwcIddEEviPKT_llliiiiiiiiPS3_ibb.uses_flat_scratch, 0
	.set _ZN2at6native12_GLOBAL__N_130avg_pool2d_out_cuda_frame_nhwcIddEEviPKT_llliiiiiiiiPS3_ibb.has_dyn_sized_stack, 0
	.set _ZN2at6native12_GLOBAL__N_130avg_pool2d_out_cuda_frame_nhwcIddEEviPKT_llliiiiiiiiPS3_ibb.has_recursion, 0
	.set _ZN2at6native12_GLOBAL__N_130avg_pool2d_out_cuda_frame_nhwcIddEEviPKT_llliiiiiiiiPS3_ibb.has_indirect_call, 0
	.section	.AMDGPU.csdata,"",@progbits
; Kernel info:
; codeLenInByte = 3012
; TotalNumSgprs: 58
; NumVgprs: 24
; ScratchSize: 0
; MemoryBound: 0
; FloatMode: 240
; IeeeMode: 1
; LDSByteSize: 0 bytes/workgroup (compile time only)
; SGPRBlocks: 7
; VGPRBlocks: 5
; NumSGPRsForWavesPerEU: 58
; NumVGPRsForWavesPerEU: 24
; Occupancy: 10
; WaveLimiterHint : 0
; COMPUTE_PGM_RSRC2:SCRATCH_EN: 0
; COMPUTE_PGM_RSRC2:USER_SGPR: 6
; COMPUTE_PGM_RSRC2:TRAP_HANDLER: 0
; COMPUTE_PGM_RSRC2:TGID_X_EN: 1
; COMPUTE_PGM_RSRC2:TGID_Y_EN: 0
; COMPUTE_PGM_RSRC2:TGID_Z_EN: 0
; COMPUTE_PGM_RSRC2:TIDIG_COMP_CNT: 0
	.section	.text._ZN2at6native12_GLOBAL__N_125avg_pool2d_out_cuda_frameIddEEviPKT_lllliiiiiiiPS3_ibb,"axG",@progbits,_ZN2at6native12_GLOBAL__N_125avg_pool2d_out_cuda_frameIddEEviPKT_lllliiiiiiiPS3_ibb,comdat
	.globl	_ZN2at6native12_GLOBAL__N_125avg_pool2d_out_cuda_frameIddEEviPKT_lllliiiiiiiPS3_ibb ; -- Begin function _ZN2at6native12_GLOBAL__N_125avg_pool2d_out_cuda_frameIddEEviPKT_lllliiiiiiiPS3_ibb
	.p2align	8
	.type	_ZN2at6native12_GLOBAL__N_125avg_pool2d_out_cuda_frameIddEEviPKT_lllliiiiiiiPS3_ibb,@function
_ZN2at6native12_GLOBAL__N_125avg_pool2d_out_cuda_frameIddEEviPKT_lllliiiiiiiPS3_ibb: ; @_ZN2at6native12_GLOBAL__N_125avg_pool2d_out_cuda_frameIddEEviPKT_lllliiiiiiiPS3_ibb
; %bb.0:
	s_load_dword s24, s[4:5], 0x0
	s_load_dword s0, s[4:5], 0x6c
	v_mov_b32_e32 v2, 0
	v_mov_b32_e32 v1, v2
	;; [unrolled: 1-line block ×3, first 2 shown]
	s_waitcnt lgkmcnt(0)
	s_ashr_i32 s25, s24, 31
	s_add_u32 s26, s4, 0x60
	s_addc_u32 s27, s5, 0
	s_and_b32 s30, s0, 0xffff
	v_mad_u64_u32 v[0:1], s[0:1], s30, v3, v[0:1]
	v_cmp_gt_i64_e32 vcc, s[24:25], v[0:1]
	s_and_saveexec_b64 s[0:1], vcc
	s_cbranch_execz .LBB1_13
; %bb.1:
	s_load_dwordx4 s[16:19], s[4:5], 0x50
	s_load_dword s2, s[4:5], 0x5c
	s_load_dwordx8 s[8:15], s[4:5], 0x30
	s_mov_b64 s[28:29], 0
	s_waitcnt lgkmcnt(0)
	s_bitcmp1_b32 s19, 0
	s_cselect_b64 s[0:1], -1, 0
	s_bitcmp1_b32 s2, 8
	s_cselect_b64 s[2:3], -1, 0
	s_abs_i32 s15, s8
	v_cvt_f32_u32_e32 v3, s15
	s_load_dwordx2 s[6:7], s[4:5], 0x8
	s_load_dwordx4 s[20:23], s[4:5], 0x18
	s_load_dword s19, s[26:27], 0x0
	s_ashr_i32 s45, s8, 31
	s_load_dwordx2 s[26:27], s[4:5], 0x28
	v_rcp_iflag_f32_e32 v3, v3
	s_sub_i32 s4, 0, s15
	s_waitcnt lgkmcnt(0)
	s_mul_i32 s19, s19, s30
	s_add_i32 s33, s13, s20
	v_mul_f32_e32 v3, 0x4f7ffffe, v3
	v_cvt_u32_f32_e32 v3, v3
	s_add_i32 s44, s14, s22
	s_lshl_b64 s[30:31], s[20:21], 3
	s_lshl_b64 s[34:35], s[22:23], 3
	v_mul_lo_u32 v4, s4, v3
	s_ashr_i32 s36, s27, 31
	v_mul_hi_u32 v4, v3, v4
	v_add_u32_e32 v12, v3, v4
	s_branch .LBB1_3
.LBB1_2:                                ;   in Loop: Header=BB1_3 Depth=1
	s_or_b64 exec, exec, s[38:39]
	v_lshlrev_b64 v[3:4], 3, v[0:1]
	v_add_co_u32_e32 v0, vcc, s19, v0
	v_addc_co_u32_e32 v1, vcc, 0, v1, vcc
	v_cmp_le_i64_e32 vcc, s[24:25], v[0:1]
	v_mov_b32_e32 v5, s17
	v_add_co_u32_e64 v3, s[4:5], s16, v3
	v_addc_co_u32_e64 v4, s[4:5], v5, v4, s[4:5]
	s_or_b64 s[28:29], vcc, s[28:29]
	global_store_dwordx2 v[3:4], v[9:10], off
	s_andn2_b64 exec, exec, s[28:29]
	s_cbranch_execz .LBB1_13
.LBB1_3:                                ; =>This Loop Header: Depth=1
                                        ;     Child Loop BB1_9 Depth 2
                                        ;       Child Loop BB1_10 Depth 3
	v_sub_u32_e32 v3, 0, v0
	v_max_i32_e32 v3, v0, v3
	v_mul_hi_u32 v4, v3, v12
	v_ashrrev_i32_e32 v6, 31, v0
	v_xor_b32_e32 v6, s45, v6
	v_mul_lo_u32 v5, v4, s15
	v_add_u32_e32 v7, 1, v4
	v_sub_u32_e32 v3, v3, v5
	v_cmp_le_u32_e32 vcc, s15, v3
	v_subrev_u32_e32 v5, s15, v3
	v_cndmask_b32_e32 v4, v4, v7, vcc
	v_cndmask_b32_e32 v3, v3, v5, vcc
	v_add_u32_e32 v5, 1, v4
	v_cmp_le_u32_e32 vcc, s15, v3
	v_cndmask_b32_e32 v3, v4, v5, vcc
	v_xor_b32_e32 v3, v3, v6
	v_sub_u32_e32 v4, v3, v6
	v_ashrrev_i32_e32 v5, 31, v4
	v_or_b32_e32 v3, s27, v5
	v_cmp_ne_u64_e32 vcc, 0, v[2:3]
                                        ; implicit-def: $vgpr7_vgpr8
	s_and_saveexec_b64 s[4:5], vcc
	s_xor_b64 s[38:39], exec, s[4:5]
	s_cbranch_execz .LBB1_5
; %bb.4:                                ;   in Loop: Header=BB1_3 Depth=1
	s_add_u32 s4, s26, s36
	s_mov_b32 s37, s36
	s_addc_u32 s5, s27, s36
	s_xor_b64 s[40:41], s[4:5], s[36:37]
	v_cvt_f32_u32_e32 v3, s40
	v_cvt_f32_u32_e32 v6, s41
	s_sub_u32 s21, 0, s40
	s_subb_u32 s37, 0, s41
	v_mac_f32_e32 v3, 0x4f800000, v6
	v_rcp_f32_e32 v3, v3
	v_mul_f32_e32 v3, 0x5f7ffffc, v3
	v_mul_f32_e32 v6, 0x2f800000, v3
	v_trunc_f32_e32 v6, v6
	v_mac_f32_e32 v3, 0xcf800000, v6
	v_cvt_u32_f32_e32 v6, v6
	v_cvt_u32_f32_e32 v3, v3
	v_readfirstlane_b32 s42, v6
	v_readfirstlane_b32 s4, v3
	s_mul_i32 s5, s21, s42
	s_mul_hi_u32 s46, s21, s4
	s_mul_i32 s43, s37, s4
	s_add_i32 s5, s46, s5
	s_add_i32 s5, s5, s43
	s_mul_i32 s47, s21, s4
	s_mul_i32 s46, s4, s5
	s_mul_hi_u32 s48, s4, s47
	s_mul_hi_u32 s43, s4, s5
	s_add_u32 s46, s48, s46
	s_addc_u32 s43, 0, s43
	s_mul_hi_u32 s49, s42, s47
	s_mul_i32 s47, s42, s47
	s_add_u32 s46, s46, s47
	s_mul_hi_u32 s48, s42, s5
	s_addc_u32 s43, s43, s49
	s_addc_u32 s46, s48, 0
	s_mul_i32 s5, s42, s5
	s_add_u32 s5, s43, s5
	s_addc_u32 s43, 0, s46
	s_add_u32 s46, s4, s5
	s_cselect_b64 s[4:5], -1, 0
	s_cmp_lg_u64 s[4:5], 0
	s_addc_u32 s42, s42, s43
	s_mul_i32 s4, s21, s42
	s_mul_hi_u32 s5, s21, s46
	s_add_i32 s4, s5, s4
	s_mul_i32 s37, s37, s46
	s_add_i32 s4, s4, s37
	s_mul_i32 s21, s21, s46
	s_mul_hi_u32 s37, s42, s21
	s_mul_i32 s43, s42, s21
	s_mul_i32 s48, s46, s4
	s_mul_hi_u32 s21, s46, s21
	s_mul_hi_u32 s47, s46, s4
	s_add_u32 s21, s21, s48
	s_addc_u32 s47, 0, s47
	s_add_u32 s21, s21, s43
	s_mul_hi_u32 s5, s42, s4
	s_addc_u32 s21, s47, s37
	s_addc_u32 s5, s5, 0
	s_mul_i32 s4, s42, s4
	s_add_u32 s4, s21, s4
	s_addc_u32 s21, 0, s5
	s_add_u32 s37, s46, s4
	s_cselect_b64 s[4:5], -1, 0
	v_ashrrev_i32_e32 v3, 31, v5
	s_cmp_lg_u64 s[4:5], 0
	v_add_co_u32_e32 v6, vcc, v4, v3
	s_addc_u32 s21, s42, s21
	v_xor_b32_e32 v9, v6, v3
	v_addc_co_u32_e32 v7, vcc, v5, v3, vcc
	v_mad_u64_u32 v[5:6], s[4:5], v9, s21, 0
	v_mul_hi_u32 v8, v9, s37
	v_xor_b32_e32 v10, v7, v3
	v_xor_b32_e32 v3, s36, v3
	v_add_co_u32_e32 v11, vcc, v8, v5
	v_addc_co_u32_e32 v13, vcc, 0, v6, vcc
	v_mad_u64_u32 v[5:6], s[4:5], v10, s37, 0
	v_mad_u64_u32 v[7:8], s[4:5], v10, s21, 0
	v_add_co_u32_e32 v5, vcc, v11, v5
	v_addc_co_u32_e32 v5, vcc, v13, v6, vcc
	v_addc_co_u32_e32 v6, vcc, 0, v8, vcc
	v_add_co_u32_e32 v7, vcc, v5, v7
	v_addc_co_u32_e32 v8, vcc, 0, v6, vcc
	v_mul_lo_u32 v11, s41, v7
	v_mul_lo_u32 v13, s40, v8
	v_mad_u64_u32 v[5:6], s[4:5], s40, v7, 0
	v_add3_u32 v6, v6, v13, v11
	v_sub_u32_e32 v11, v10, v6
	v_mov_b32_e32 v13, s41
	v_sub_co_u32_e32 v5, vcc, v9, v5
	v_subb_co_u32_e64 v9, s[4:5], v11, v13, vcc
	v_subrev_co_u32_e64 v11, s[4:5], s40, v5
	v_subbrev_co_u32_e64 v9, s[4:5], 0, v9, s[4:5]
	v_cmp_le_u32_e64 s[4:5], s41, v9
	v_cndmask_b32_e64 v13, 0, -1, s[4:5]
	v_cmp_le_u32_e64 s[4:5], s40, v11
	v_cndmask_b32_e64 v11, 0, -1, s[4:5]
	v_cmp_eq_u32_e64 s[4:5], s41, v9
	v_cndmask_b32_e64 v9, v13, v11, s[4:5]
	v_add_co_u32_e64 v11, s[4:5], 2, v7
	v_subb_co_u32_e32 v6, vcc, v10, v6, vcc
	v_addc_co_u32_e64 v13, s[4:5], 0, v8, s[4:5]
	v_cmp_le_u32_e32 vcc, s41, v6
	v_add_co_u32_e64 v14, s[4:5], 1, v7
	v_cndmask_b32_e64 v10, 0, -1, vcc
	v_cmp_le_u32_e32 vcc, s40, v5
	v_addc_co_u32_e64 v15, s[4:5], 0, v8, s[4:5]
	v_cndmask_b32_e64 v5, 0, -1, vcc
	v_cmp_eq_u32_e32 vcc, s41, v6
	v_cmp_ne_u32_e64 s[4:5], 0, v9
	v_cndmask_b32_e32 v5, v10, v5, vcc
	v_cmp_ne_u32_e32 vcc, 0, v5
	v_cndmask_b32_e64 v6, v14, v11, s[4:5]
	v_cndmask_b32_e64 v9, v15, v13, s[4:5]
	v_cndmask_b32_e32 v6, v7, v6, vcc
	v_cndmask_b32_e32 v5, v8, v9, vcc
	v_xor_b32_e32 v6, v6, v3
	v_xor_b32_e32 v5, v5, v3
	v_sub_co_u32_e32 v7, vcc, v6, v3
	v_subb_co_u32_e32 v8, vcc, v5, v3, vcc
.LBB1_5:                                ;   in Loop: Header=BB1_3 Depth=1
	s_andn2_saveexec_b64 s[4:5], s[38:39]
	s_cbranch_execz .LBB1_7
; %bb.6:                                ;   in Loop: Header=BB1_3 Depth=1
	v_cvt_f32_u32_e32 v3, s26
	s_sub_i32 s21, 0, s26
	v_mov_b32_e32 v8, v2
	v_rcp_iflag_f32_e32 v3, v3
	v_mul_f32_e32 v3, 0x4f7ffffe, v3
	v_cvt_u32_f32_e32 v3, v3
	v_mul_lo_u32 v5, s21, v3
	v_mul_hi_u32 v5, v3, v5
	v_add_u32_e32 v3, v3, v5
	v_mul_hi_u32 v3, v4, v3
	v_mul_lo_u32 v5, v3, s26
	v_add_u32_e32 v6, 1, v3
	v_sub_u32_e32 v5, v4, v5
	v_subrev_u32_e32 v7, s26, v5
	v_cmp_le_u32_e32 vcc, s26, v5
	v_cndmask_b32_e32 v5, v5, v7, vcc
	v_cndmask_b32_e32 v3, v3, v6, vcc
	v_add_u32_e32 v6, 1, v3
	v_cmp_le_u32_e32 vcc, s26, v5
	v_cndmask_b32_e32 v7, v3, v6, vcc
.LBB1_7:                                ;   in Loop: Header=BB1_3 Depth=1
	s_or_b64 exec, exec, s[4:5]
	v_mul_lo_u32 v3, v4, s8
	v_mul_lo_u32 v5, v7, s26
	v_mov_b32_e32 v9, 0
	v_mov_b32_e32 v10, 0
	v_sub_u32_e32 v3, v0, v3
	v_sub_u32_e32 v4, v4, v5
	v_mul_lo_u32 v4, s11, v4
	v_mul_lo_u32 v3, v3, s12
	v_subrev_u32_e32 v13, s13, v4
	v_subrev_u32_e32 v14, s14, v3
	v_add_u32_e32 v3, s9, v13
	v_add_u32_e32 v4, s10, v14
	v_min_i32_e32 v15, s33, v3
	v_min_i32_e32 v16, s44, v4
	v_max_i32_e32 v5, 0, v13
	v_max_i32_e32 v3, 0, v14
	v_min_i32_e32 v17, s20, v15
	v_min_i32_e32 v18, s22, v16
	v_cmp_gt_i32_e32 vcc, v17, v5
	v_cmp_gt_i32_e64 s[4:5], v18, v3
	s_and_b64 s[4:5], s[4:5], vcc
	s_and_saveexec_b64 s[38:39], s[4:5]
	s_cbranch_execz .LBB1_2
; %bb.8:                                ;   in Loop: Header=BB1_3 Depth=1
	v_mov_b32_e32 v6, v2
	v_lshlrev_b64 v[9:10], 3, v[5:6]
	v_mul_lo_u32 v8, s30, v8
	v_mul_lo_u32 v11, s31, v7
	v_mad_u64_u32 v[6:7], s[4:5], s30, v7, v[9:10]
	v_mov_b32_e32 v4, v2
	s_mov_b64 s[40:41], 0
	v_add3_u32 v9, v11, v7, v8
	v_lshlrev_b64 v[7:8], 3, v[3:4]
	v_mul_lo_u32 v4, s22, v9
	v_mad_u64_u32 v[7:8], s[4:5], s22, v6, v[7:8]
	v_mul_lo_u32 v6, s23, v6
	v_add3_u32 v4, v6, v8, v4
	v_mov_b32_e32 v6, s7
	v_add_co_u32_e32 v8, vcc, s6, v7
	v_addc_co_u32_e32 v9, vcc, v6, v4, vcc
	v_mov_b32_e32 v6, 0
	v_mov_b32_e32 v7, 0
	;; [unrolled: 1-line block ×3, first 2 shown]
.LBB1_9:                                ;   Parent Loop BB1_3 Depth=1
                                        ; =>  This Loop Header: Depth=2
                                        ;       Child Loop BB1_10 Depth 3
	v_mov_b32_e32 v11, v9
	s_mov_b64 s[42:43], 0
	v_mov_b32_e32 v10, v8
	v_mov_b32_e32 v19, v3
.LBB1_10:                               ;   Parent Loop BB1_3 Depth=1
                                        ;     Parent Loop BB1_9 Depth=2
                                        ; =>    This Inner Loop Header: Depth=3
	global_load_dwordx2 v[20:21], v[10:11], off
	v_add_u32_e32 v19, 1, v19
	v_add_co_u32_e32 v10, vcc, 8, v10
	v_cmp_ge_i32_e64 s[4:5], v19, v18
	s_or_b64 s[42:43], s[4:5], s[42:43]
	v_addc_co_u32_e32 v11, vcc, 0, v11, vcc
	s_waitcnt vmcnt(0)
	v_add_f64 v[6:7], v[6:7], v[20:21]
	s_andn2_b64 exec, exec, s[42:43]
	s_cbranch_execnz .LBB1_10
; %bb.11:                               ;   in Loop: Header=BB1_9 Depth=2
	s_or_b64 exec, exec, s[42:43]
	v_add_u32_e32 v4, 1, v4
	v_cmp_ge_i32_e32 vcc, v4, v17
	v_mov_b32_e32 v10, s35
	s_or_b64 s[40:41], vcc, s[40:41]
	v_add_co_u32_e32 v8, vcc, s34, v8
	v_addc_co_u32_e32 v9, vcc, v9, v10, vcc
	s_andn2_b64 exec, exec, s[40:41]
	s_cbranch_execnz .LBB1_9
; %bb.12:                               ;   in Loop: Header=BB1_3 Depth=1
	s_or_b64 exec, exec, s[40:41]
	v_sub_u32_e32 v4, v15, v13
	v_sub_u32_e32 v8, v16, v14
	;; [unrolled: 1-line block ×4, first 2 shown]
	v_mul_lo_u32 v4, v4, v8
	v_mul_lo_u32 v3, v5, v3
	v_cndmask_b32_e64 v3, v3, v4, s[0:1]
	v_mov_b32_e32 v4, s18
	v_cndmask_b32_e64 v3, v3, v4, s[2:3]
	v_cvt_f64_i32_e32 v[3:4], v3
	v_div_scale_f64 v[8:9], s[4:5], v[3:4], v[3:4], v[6:7]
	v_div_scale_f64 v[15:16], vcc, v[6:7], v[3:4], v[6:7]
	v_rcp_f64_e32 v[10:11], v[8:9]
	v_fma_f64 v[13:14], -v[8:9], v[10:11], 1.0
	v_fma_f64 v[10:11], v[10:11], v[13:14], v[10:11]
	v_fma_f64 v[13:14], -v[8:9], v[10:11], 1.0
	v_fma_f64 v[10:11], v[10:11], v[13:14], v[10:11]
	v_mul_f64 v[13:14], v[15:16], v[10:11]
	v_fma_f64 v[8:9], -v[8:9], v[13:14], v[15:16]
	v_div_fmas_f64 v[8:9], v[8:9], v[10:11], v[13:14]
	v_div_fixup_f64 v[9:10], v[8:9], v[3:4], v[6:7]
	s_branch .LBB1_2
.LBB1_13:
	s_endpgm
	.section	.rodata,"a",@progbits
	.p2align	6, 0x0
	.amdhsa_kernel _ZN2at6native12_GLOBAL__N_125avg_pool2d_out_cuda_frameIddEEviPKT_lllliiiiiiiPS3_ibb
		.amdhsa_group_segment_fixed_size 0
		.amdhsa_private_segment_fixed_size 0
		.amdhsa_kernarg_size 352
		.amdhsa_user_sgpr_count 6
		.amdhsa_user_sgpr_private_segment_buffer 1
		.amdhsa_user_sgpr_dispatch_ptr 0
		.amdhsa_user_sgpr_queue_ptr 0
		.amdhsa_user_sgpr_kernarg_segment_ptr 1
		.amdhsa_user_sgpr_dispatch_id 0
		.amdhsa_user_sgpr_flat_scratch_init 0
		.amdhsa_user_sgpr_private_segment_size 0
		.amdhsa_uses_dynamic_stack 0
		.amdhsa_system_sgpr_private_segment_wavefront_offset 0
		.amdhsa_system_sgpr_workgroup_id_x 1
		.amdhsa_system_sgpr_workgroup_id_y 0
		.amdhsa_system_sgpr_workgroup_id_z 0
		.amdhsa_system_sgpr_workgroup_info 0
		.amdhsa_system_vgpr_workitem_id 0
		.amdhsa_next_free_vgpr 22
		.amdhsa_next_free_sgpr 50
		.amdhsa_reserve_vcc 1
		.amdhsa_reserve_flat_scratch 0
		.amdhsa_float_round_mode_32 0
		.amdhsa_float_round_mode_16_64 0
		.amdhsa_float_denorm_mode_32 3
		.amdhsa_float_denorm_mode_16_64 3
		.amdhsa_dx10_clamp 1
		.amdhsa_ieee_mode 1
		.amdhsa_fp16_overflow 0
		.amdhsa_exception_fp_ieee_invalid_op 0
		.amdhsa_exception_fp_denorm_src 0
		.amdhsa_exception_fp_ieee_div_zero 0
		.amdhsa_exception_fp_ieee_overflow 0
		.amdhsa_exception_fp_ieee_underflow 0
		.amdhsa_exception_fp_ieee_inexact 0
		.amdhsa_exception_int_div_zero 0
	.end_amdhsa_kernel
	.section	.text._ZN2at6native12_GLOBAL__N_125avg_pool2d_out_cuda_frameIddEEviPKT_lllliiiiiiiPS3_ibb,"axG",@progbits,_ZN2at6native12_GLOBAL__N_125avg_pool2d_out_cuda_frameIddEEviPKT_lllliiiiiiiPS3_ibb,comdat
.Lfunc_end1:
	.size	_ZN2at6native12_GLOBAL__N_125avg_pool2d_out_cuda_frameIddEEviPKT_lllliiiiiiiPS3_ibb, .Lfunc_end1-_ZN2at6native12_GLOBAL__N_125avg_pool2d_out_cuda_frameIddEEviPKT_lllliiiiiiiPS3_ibb
                                        ; -- End function
	.set _ZN2at6native12_GLOBAL__N_125avg_pool2d_out_cuda_frameIddEEviPKT_lllliiiiiiiPS3_ibb.num_vgpr, 22
	.set _ZN2at6native12_GLOBAL__N_125avg_pool2d_out_cuda_frameIddEEviPKT_lllliiiiiiiPS3_ibb.num_agpr, 0
	.set _ZN2at6native12_GLOBAL__N_125avg_pool2d_out_cuda_frameIddEEviPKT_lllliiiiiiiPS3_ibb.numbered_sgpr, 50
	.set _ZN2at6native12_GLOBAL__N_125avg_pool2d_out_cuda_frameIddEEviPKT_lllliiiiiiiPS3_ibb.num_named_barrier, 0
	.set _ZN2at6native12_GLOBAL__N_125avg_pool2d_out_cuda_frameIddEEviPKT_lllliiiiiiiPS3_ibb.private_seg_size, 0
	.set _ZN2at6native12_GLOBAL__N_125avg_pool2d_out_cuda_frameIddEEviPKT_lllliiiiiiiPS3_ibb.uses_vcc, 1
	.set _ZN2at6native12_GLOBAL__N_125avg_pool2d_out_cuda_frameIddEEviPKT_lllliiiiiiiPS3_ibb.uses_flat_scratch, 0
	.set _ZN2at6native12_GLOBAL__N_125avg_pool2d_out_cuda_frameIddEEviPKT_lllliiiiiiiPS3_ibb.has_dyn_sized_stack, 0
	.set _ZN2at6native12_GLOBAL__N_125avg_pool2d_out_cuda_frameIddEEviPKT_lllliiiiiiiPS3_ibb.has_recursion, 0
	.set _ZN2at6native12_GLOBAL__N_125avg_pool2d_out_cuda_frameIddEEviPKT_lllliiiiiiiPS3_ibb.has_indirect_call, 0
	.section	.AMDGPU.csdata,"",@progbits
; Kernel info:
; codeLenInByte = 1600
; TotalNumSgprs: 54
; NumVgprs: 22
; ScratchSize: 0
; MemoryBound: 0
; FloatMode: 240
; IeeeMode: 1
; LDSByteSize: 0 bytes/workgroup (compile time only)
; SGPRBlocks: 6
; VGPRBlocks: 5
; NumSGPRsForWavesPerEU: 54
; NumVGPRsForWavesPerEU: 22
; Occupancy: 10
; WaveLimiterHint : 0
; COMPUTE_PGM_RSRC2:SCRATCH_EN: 0
; COMPUTE_PGM_RSRC2:USER_SGPR: 6
; COMPUTE_PGM_RSRC2:TRAP_HANDLER: 0
; COMPUTE_PGM_RSRC2:TGID_X_EN: 1
; COMPUTE_PGM_RSRC2:TGID_Y_EN: 0
; COMPUTE_PGM_RSRC2:TGID_Z_EN: 0
; COMPUTE_PGM_RSRC2:TIDIG_COMP_CNT: 0
	.section	.text._ZN2at6native12_GLOBAL__N_130avg_pool2d_out_cuda_frame_nhwcIffEEviPKT_llliiiiiiiiPS3_ibb,"axG",@progbits,_ZN2at6native12_GLOBAL__N_130avg_pool2d_out_cuda_frame_nhwcIffEEviPKT_llliiiiiiiiPS3_ibb,comdat
	.globl	_ZN2at6native12_GLOBAL__N_130avg_pool2d_out_cuda_frame_nhwcIffEEviPKT_llliiiiiiiiPS3_ibb ; -- Begin function _ZN2at6native12_GLOBAL__N_130avg_pool2d_out_cuda_frame_nhwcIffEEviPKT_llliiiiiiiiPS3_ibb
	.p2align	8
	.type	_ZN2at6native12_GLOBAL__N_130avg_pool2d_out_cuda_frame_nhwcIffEEviPKT_llliiiiiiiiPS3_ibb,@function
_ZN2at6native12_GLOBAL__N_130avg_pool2d_out_cuda_frame_nhwcIffEEviPKT_llliiiiiiiiPS3_ibb: ; @_ZN2at6native12_GLOBAL__N_130avg_pool2d_out_cuda_frame_nhwcIffEEviPKT_llliiiiiiiiPS3_ibb
; %bb.0:
	s_load_dword s28, s[4:5], 0x0
	s_load_dword s0, s[4:5], 0x64
	v_mov_b32_e32 v2, 0
	v_mov_b32_e32 v1, v2
	;; [unrolled: 1-line block ×3, first 2 shown]
	s_waitcnt lgkmcnt(0)
	s_ashr_i32 s29, s28, 31
	s_add_u32 s30, s4, 0x58
	s_addc_u32 s31, s5, 0
	s_and_b32 s7, s0, 0xffff
	v_mad_u64_u32 v[0:1], s[0:1], s7, v3, v[0:1]
	v_cmp_gt_i64_e32 vcc, s[28:29], v[0:1]
	s_and_saveexec_b64 s[0:1], vcc
	s_cbranch_execz .LBB2_21
; %bb.1:
	s_load_dwordx4 s[24:27], s[4:5], 0x48
	s_load_dword s2, s[4:5], 0x54
	s_load_dwordx8 s[8:15], s[4:5], 0x8
	s_load_dwordx8 s[16:23], s[4:5], 0x28
	s_mov_b64 s[36:37], 0
	s_load_dword s4, s[30:31], 0x0
	s_waitcnt lgkmcnt(0)
	s_bitcmp1_b32 s27, 0
	s_cselect_b64 s[0:1], -1, 0
	s_bitcmp1_b32 s2, 8
	s_mul_hi_u32 s5, s14, s12
	s_mul_i32 s48, s4, s7
	s_mul_i32 s4, s14, s13
	s_cselect_b64 s[2:3], -1, 0
	s_add_i32 s4, s5, s4
	s_mul_i32 s5, s15, s12
	s_add_i32 s5, s4, s5
	s_mul_i32 s4, s14, s12
	s_lshl_b64 s[6:7], s[4:5], 2
	s_mul_i32 s4, s14, s11
	s_mul_hi_u32 s5, s14, s10
	s_add_i32 s4, s5, s4
	s_mul_i32 s5, s15, s10
	s_add_i32 s5, s4, s5
	s_mul_i32 s4, s14, s10
	s_ashr_i32 s27, s17, 31
	s_ashr_i32 s33, s16, 31
	s_add_i32 s46, s22, s12
	s_add_i32 s47, s23, s14
	s_lshl_b64 s[30:31], s[4:5], 2
	s_lshl_b64 s[34:35], s[10:11], 2
	s_ashr_i32 s38, s11, 31
	s_branch .LBB2_3
.LBB2_2:                                ;   in Loop: Header=BB2_3 Depth=1
	s_or_b64 exec, exec, s[4:5]
	v_add_co_u32_e32 v0, vcc, s48, v0
	v_addc_co_u32_e32 v1, vcc, 0, v1, vcc
	v_cmp_le_i64_e32 vcc, s[28:29], v[0:1]
	v_mov_b32_e32 v5, s25
	v_add_co_u32_e64 v4, s[4:5], s24, v6
	v_addc_co_u32_e64 v5, s[4:5], v5, v7, s[4:5]
	s_or_b64 s[36:37], vcc, s[36:37]
	global_store_dword v[4:5], v3, off
	s_andn2_b64 exec, exec, s[36:37]
	s_cbranch_execz .LBB2_21
.LBB2_3:                                ; =>This Loop Header: Depth=1
                                        ;     Child Loop BB2_17 Depth 2
                                        ;       Child Loop BB2_18 Depth 3
	v_or_b32_e32 v3, s11, v1
	v_cmp_ne_u64_e32 vcc, 0, v[2:3]
                                        ; implicit-def: $vgpr4_vgpr5
	s_and_saveexec_b64 s[4:5], vcc
	s_xor_b64 s[40:41], exec, s[4:5]
	s_cbranch_execz .LBB2_5
; %bb.4:                                ;   in Loop: Header=BB2_3 Depth=1
	s_add_u32 s4, s10, s38
	s_mov_b32 s39, s38
	s_addc_u32 s5, s11, s38
	s_xor_b64 s[42:43], s[4:5], s[38:39]
	v_cvt_f32_u32_e32 v3, s42
	v_cvt_f32_u32_e32 v4, s43
	s_sub_u32 s13, 0, s42
	s_subb_u32 s39, 0, s43
	v_ashrrev_i32_e32 v7, 31, v1
	v_mac_f32_e32 v3, 0x4f800000, v4
	v_rcp_f32_e32 v3, v3
	v_mul_f32_e32 v3, 0x5f7ffffc, v3
	v_mul_f32_e32 v4, 0x2f800000, v3
	v_trunc_f32_e32 v4, v4
	v_mac_f32_e32 v3, 0xcf800000, v4
	v_cvt_u32_f32_e32 v4, v4
	v_cvt_u32_f32_e32 v3, v3
	v_readfirstlane_b32 s44, v4
	v_readfirstlane_b32 s4, v3
	s_mul_i32 s5, s13, s44
	s_mul_hi_u32 s49, s13, s4
	s_mul_i32 s45, s39, s4
	s_add_i32 s5, s49, s5
	s_add_i32 s5, s5, s45
	s_mul_i32 s50, s13, s4
	s_mul_i32 s49, s4, s5
	s_mul_hi_u32 s51, s4, s50
	s_mul_hi_u32 s45, s4, s5
	s_add_u32 s49, s51, s49
	s_addc_u32 s45, 0, s45
	s_mul_hi_u32 s52, s44, s50
	s_mul_i32 s50, s44, s50
	s_add_u32 s49, s49, s50
	s_mul_hi_u32 s51, s44, s5
	s_addc_u32 s45, s45, s52
	s_addc_u32 s49, s51, 0
	s_mul_i32 s5, s44, s5
	s_add_u32 s5, s45, s5
	s_addc_u32 s45, 0, s49
	s_add_u32 s49, s4, s5
	s_cselect_b64 s[4:5], -1, 0
	s_cmp_lg_u64 s[4:5], 0
	s_addc_u32 s44, s44, s45
	s_mul_i32 s4, s13, s44
	s_mul_hi_u32 s5, s13, s49
	s_add_i32 s4, s5, s4
	s_mul_i32 s39, s39, s49
	s_add_i32 s4, s4, s39
	s_mul_i32 s13, s13, s49
	s_mul_hi_u32 s39, s44, s13
	s_mul_i32 s45, s44, s13
	s_mul_i32 s51, s49, s4
	s_mul_hi_u32 s13, s49, s13
	s_mul_hi_u32 s50, s49, s4
	s_add_u32 s13, s13, s51
	s_addc_u32 s50, 0, s50
	s_add_u32 s13, s13, s45
	s_mul_hi_u32 s5, s44, s4
	s_addc_u32 s13, s50, s39
	s_addc_u32 s5, s5, 0
	s_mul_i32 s4, s44, s4
	s_add_u32 s4, s13, s4
	s_addc_u32 s13, 0, s5
	s_add_u32 s39, s49, s4
	s_cselect_b64 s[4:5], -1, 0
	s_cmp_lg_u64 s[4:5], 0
	v_add_co_u32_e32 v3, vcc, v0, v7
	s_addc_u32 s13, s44, s13
	v_xor_b32_e32 v8, v3, v7
	v_mad_u64_u32 v[3:4], s[4:5], v8, s13, 0
	v_mul_hi_u32 v6, v8, s39
	v_addc_co_u32_e32 v5, vcc, v1, v7, vcc
	v_xor_b32_e32 v9, v5, v7
	v_add_co_u32_e32 v10, vcc, v6, v3
	v_addc_co_u32_e32 v11, vcc, 0, v4, vcc
	v_mad_u64_u32 v[3:4], s[4:5], v9, s39, 0
	v_mad_u64_u32 v[5:6], s[4:5], v9, s13, 0
	v_add_co_u32_e32 v3, vcc, v10, v3
	v_addc_co_u32_e32 v3, vcc, v11, v4, vcc
	v_addc_co_u32_e32 v4, vcc, 0, v6, vcc
	v_add_co_u32_e32 v5, vcc, v3, v5
	v_addc_co_u32_e32 v6, vcc, 0, v4, vcc
	v_mul_lo_u32 v10, s43, v5
	v_mul_lo_u32 v11, s42, v6
	v_mad_u64_u32 v[3:4], s[4:5], s42, v5, 0
	v_add3_u32 v4, v4, v11, v10
	v_sub_u32_e32 v10, v9, v4
	v_mov_b32_e32 v11, s43
	v_sub_co_u32_e32 v3, vcc, v8, v3
	v_subb_co_u32_e64 v8, s[4:5], v10, v11, vcc
	v_subrev_co_u32_e64 v10, s[4:5], s42, v3
	v_subbrev_co_u32_e64 v8, s[4:5], 0, v8, s[4:5]
	v_cmp_le_u32_e64 s[4:5], s43, v8
	v_cndmask_b32_e64 v11, 0, -1, s[4:5]
	v_cmp_le_u32_e64 s[4:5], s42, v10
	v_cndmask_b32_e64 v10, 0, -1, s[4:5]
	v_cmp_eq_u32_e64 s[4:5], s43, v8
	v_cndmask_b32_e64 v8, v11, v10, s[4:5]
	v_add_co_u32_e64 v10, s[4:5], 2, v5
	v_subb_co_u32_e32 v4, vcc, v9, v4, vcc
	v_addc_co_u32_e64 v11, s[4:5], 0, v6, s[4:5]
	v_cmp_le_u32_e32 vcc, s43, v4
	v_add_co_u32_e64 v12, s[4:5], 1, v5
	v_cndmask_b32_e64 v9, 0, -1, vcc
	v_cmp_le_u32_e32 vcc, s42, v3
	v_addc_co_u32_e64 v13, s[4:5], 0, v6, s[4:5]
	v_cndmask_b32_e64 v3, 0, -1, vcc
	v_cmp_eq_u32_e32 vcc, s43, v4
	v_cmp_ne_u32_e64 s[4:5], 0, v8
	v_cndmask_b32_e32 v3, v9, v3, vcc
	v_cmp_ne_u32_e32 vcc, 0, v3
	v_cndmask_b32_e64 v4, v12, v10, s[4:5]
	v_cndmask_b32_e64 v8, v13, v11, s[4:5]
	v_cndmask_b32_e32 v4, v5, v4, vcc
	v_xor_b32_e32 v5, s38, v7
	v_cndmask_b32_e32 v3, v6, v8, vcc
	v_xor_b32_e32 v4, v4, v5
	v_xor_b32_e32 v3, v3, v5
	v_sub_co_u32_e32 v4, vcc, v4, v5
	v_subb_co_u32_e32 v5, vcc, v3, v5, vcc
.LBB2_5:                                ;   in Loop: Header=BB2_3 Depth=1
	s_andn2_saveexec_b64 s[4:5], s[40:41]
	s_cbranch_execz .LBB2_7
; %bb.6:                                ;   in Loop: Header=BB2_3 Depth=1
	v_cvt_f32_u32_e32 v3, s10
	s_sub_i32 s13, 0, s10
	v_rcp_iflag_f32_e32 v3, v3
	v_mul_f32_e32 v3, 0x4f7ffffe, v3
	v_cvt_u32_f32_e32 v3, v3
	v_mul_lo_u32 v4, s13, v3
	v_mul_hi_u32 v4, v3, v4
	v_add_u32_e32 v3, v3, v4
	v_mul_hi_u32 v3, v0, v3
	v_mul_lo_u32 v4, v3, s10
	v_add_u32_e32 v5, 1, v3
	v_sub_u32_e32 v4, v0, v4
	v_subrev_u32_e32 v6, s10, v4
	v_cmp_le_u32_e32 vcc, s10, v4
	v_cndmask_b32_e32 v4, v4, v6, vcc
	v_cndmask_b32_e32 v3, v3, v5, vcc
	v_add_u32_e32 v5, 1, v3
	v_cmp_le_u32_e32 vcc, s10, v4
	v_cndmask_b32_e32 v4, v3, v5, vcc
	v_mov_b32_e32 v5, v2
.LBB2_7:                                ;   in Loop: Header=BB2_3 Depth=1
	s_or_b64 exec, exec, s[4:5]
	v_or_b32_e32 v3, s27, v5
	v_cmp_ne_u64_e32 vcc, 0, v[2:3]
                                        ; implicit-def: $vgpr6_vgpr7
	s_and_saveexec_b64 s[4:5], vcc
	s_xor_b64 s[40:41], exec, s[4:5]
	s_cbranch_execz .LBB2_9
; %bb.8:                                ;   in Loop: Header=BB2_3 Depth=1
	s_ashr_i32 s42, s27, 31
	s_add_u32 s4, s17, s42
	s_mov_b32 s43, s42
	s_addc_u32 s5, s27, s42
	s_xor_b64 s[44:45], s[4:5], s[42:43]
	v_cvt_f32_u32_e32 v3, s44
	v_cvt_f32_u32_e32 v6, s45
	s_sub_u32 s13, 0, s44
	s_subb_u32 s39, 0, s45
	v_mac_f32_e32 v3, 0x4f800000, v6
	v_rcp_f32_e32 v3, v3
	v_mul_f32_e32 v3, 0x5f7ffffc, v3
	v_mul_f32_e32 v6, 0x2f800000, v3
	v_trunc_f32_e32 v6, v6
	v_mac_f32_e32 v3, 0xcf800000, v6
	v_cvt_u32_f32_e32 v6, v6
	v_cvt_u32_f32_e32 v3, v3
	v_readfirstlane_b32 s43, v6
	v_readfirstlane_b32 s4, v3
	s_mul_i32 s5, s13, s43
	s_mul_hi_u32 s50, s13, s4
	s_mul_i32 s49, s39, s4
	s_add_i32 s5, s50, s5
	s_add_i32 s5, s5, s49
	s_mul_i32 s51, s13, s4
	s_mul_i32 s50, s4, s5
	s_mul_hi_u32 s52, s4, s51
	s_mul_hi_u32 s49, s4, s5
	s_add_u32 s50, s52, s50
	s_addc_u32 s49, 0, s49
	s_mul_hi_u32 s53, s43, s51
	s_mul_i32 s51, s43, s51
	s_add_u32 s50, s50, s51
	s_mul_hi_u32 s52, s43, s5
	s_addc_u32 s49, s49, s53
	s_addc_u32 s50, s52, 0
	s_mul_i32 s5, s43, s5
	s_add_u32 s5, s49, s5
	s_addc_u32 s49, 0, s50
	s_add_u32 s50, s4, s5
	s_cselect_b64 s[4:5], -1, 0
	s_cmp_lg_u64 s[4:5], 0
	s_addc_u32 s43, s43, s49
	s_mul_i32 s4, s13, s43
	s_mul_hi_u32 s5, s13, s50
	s_add_i32 s4, s5, s4
	s_mul_i32 s39, s39, s50
	s_add_i32 s4, s4, s39
	s_mul_i32 s13, s13, s50
	s_mul_hi_u32 s39, s43, s13
	s_mul_i32 s49, s43, s13
	s_mul_i32 s52, s50, s4
	s_mul_hi_u32 s13, s50, s13
	s_mul_hi_u32 s51, s50, s4
	s_add_u32 s13, s13, s52
	s_addc_u32 s51, 0, s51
	s_add_u32 s13, s13, s49
	s_mul_hi_u32 s5, s43, s4
	s_addc_u32 s13, s51, s39
	s_addc_u32 s5, s5, 0
	s_mul_i32 s4, s43, s4
	s_add_u32 s4, s13, s4
	s_addc_u32 s13, 0, s5
	s_add_u32 s39, s50, s4
	s_cselect_b64 s[4:5], -1, 0
	v_ashrrev_i32_e32 v3, 31, v5
	s_cmp_lg_u64 s[4:5], 0
	v_add_co_u32_e32 v6, vcc, v4, v3
	s_addc_u32 s13, s43, s13
	v_xor_b32_e32 v10, v6, v3
	v_mad_u64_u32 v[6:7], s[4:5], v10, s13, 0
	v_mul_hi_u32 v9, v10, s39
	v_addc_co_u32_e32 v8, vcc, v5, v3, vcc
	v_xor_b32_e32 v11, v8, v3
	v_add_co_u32_e32 v12, vcc, v9, v6
	v_addc_co_u32_e32 v13, vcc, 0, v7, vcc
	v_mad_u64_u32 v[6:7], s[4:5], v11, s39, 0
	v_mad_u64_u32 v[8:9], s[4:5], v11, s13, 0
	v_add_co_u32_e32 v6, vcc, v12, v6
	v_addc_co_u32_e32 v6, vcc, v13, v7, vcc
	v_addc_co_u32_e32 v7, vcc, 0, v9, vcc
	v_add_co_u32_e32 v8, vcc, v6, v8
	v_addc_co_u32_e32 v9, vcc, 0, v7, vcc
	v_mul_lo_u32 v12, s45, v8
	v_mul_lo_u32 v13, s44, v9
	v_mad_u64_u32 v[6:7], s[4:5], s44, v8, 0
	v_xor_b32_e32 v3, s42, v3
	v_add3_u32 v7, v7, v13, v12
	v_sub_u32_e32 v12, v11, v7
	v_mov_b32_e32 v13, s45
	v_sub_co_u32_e32 v6, vcc, v10, v6
	v_subb_co_u32_e64 v10, s[4:5], v12, v13, vcc
	v_subrev_co_u32_e64 v12, s[4:5], s44, v6
	v_subbrev_co_u32_e64 v10, s[4:5], 0, v10, s[4:5]
	v_cmp_le_u32_e64 s[4:5], s45, v10
	v_cndmask_b32_e64 v13, 0, -1, s[4:5]
	v_cmp_le_u32_e64 s[4:5], s44, v12
	v_cndmask_b32_e64 v12, 0, -1, s[4:5]
	v_cmp_eq_u32_e64 s[4:5], s45, v10
	v_cndmask_b32_e64 v10, v13, v12, s[4:5]
	v_add_co_u32_e64 v12, s[4:5], 2, v8
	v_subb_co_u32_e32 v7, vcc, v11, v7, vcc
	v_addc_co_u32_e64 v13, s[4:5], 0, v9, s[4:5]
	v_cmp_le_u32_e32 vcc, s45, v7
	v_add_co_u32_e64 v14, s[4:5], 1, v8
	v_cndmask_b32_e64 v11, 0, -1, vcc
	v_cmp_le_u32_e32 vcc, s44, v6
	v_addc_co_u32_e64 v15, s[4:5], 0, v9, s[4:5]
	v_cndmask_b32_e64 v6, 0, -1, vcc
	v_cmp_eq_u32_e32 vcc, s45, v7
	v_cmp_ne_u32_e64 s[4:5], 0, v10
	v_cndmask_b32_e32 v6, v11, v6, vcc
	v_cndmask_b32_e64 v10, v15, v13, s[4:5]
	v_cmp_ne_u32_e32 vcc, 0, v6
	v_cndmask_b32_e64 v7, v14, v12, s[4:5]
	v_cndmask_b32_e32 v6, v9, v10, vcc
	v_cndmask_b32_e32 v7, v8, v7, vcc
	v_xor_b32_e32 v8, v6, v3
	v_xor_b32_e32 v6, v7, v3
	v_sub_co_u32_e32 v6, vcc, v6, v3
	v_subb_co_u32_e32 v7, vcc, v8, v3, vcc
.LBB2_9:                                ;   in Loop: Header=BB2_3 Depth=1
	s_andn2_saveexec_b64 s[4:5], s[40:41]
	s_cbranch_execz .LBB2_11
; %bb.10:                               ;   in Loop: Header=BB2_3 Depth=1
	v_cvt_f32_u32_e32 v3, s17
	s_sub_i32 s13, 0, s17
	v_rcp_iflag_f32_e32 v3, v3
	v_mul_f32_e32 v3, 0x4f7ffffe, v3
	v_cvt_u32_f32_e32 v3, v3
	v_mul_lo_u32 v6, s13, v3
	v_mul_hi_u32 v6, v3, v6
	v_add_u32_e32 v3, v3, v6
	v_mul_hi_u32 v3, v4, v3
	v_mul_lo_u32 v6, v3, s17
	v_add_u32_e32 v7, 1, v3
	v_sub_u32_e32 v6, v4, v6
	v_subrev_u32_e32 v8, s17, v6
	v_cmp_le_u32_e32 vcc, s17, v6
	v_cndmask_b32_e32 v6, v6, v8, vcc
	v_cndmask_b32_e32 v3, v3, v7, vcc
	v_add_u32_e32 v7, 1, v3
	v_cmp_le_u32_e32 vcc, s17, v6
	v_cndmask_b32_e32 v6, v3, v7, vcc
	v_mov_b32_e32 v7, v2
.LBB2_11:                               ;   in Loop: Header=BB2_3 Depth=1
	s_or_b64 exec, exec, s[4:5]
	v_or_b32_e32 v3, s33, v7
	v_cmp_ne_u64_e32 vcc, 0, v[2:3]
                                        ; implicit-def: $vgpr10_vgpr11
	s_and_saveexec_b64 s[4:5], vcc
	s_xor_b64 s[40:41], exec, s[4:5]
	s_cbranch_execz .LBB2_13
; %bb.12:                               ;   in Loop: Header=BB2_3 Depth=1
	s_ashr_i32 s42, s33, 31
	s_add_u32 s4, s16, s42
	s_mov_b32 s43, s42
	s_addc_u32 s5, s33, s42
	s_xor_b64 s[44:45], s[4:5], s[42:43]
	v_cvt_f32_u32_e32 v3, s44
	v_cvt_f32_u32_e32 v8, s45
	s_sub_u32 s13, 0, s44
	s_subb_u32 s39, 0, s45
	v_mac_f32_e32 v3, 0x4f800000, v8
	v_rcp_f32_e32 v3, v3
	v_mul_f32_e32 v3, 0x5f7ffffc, v3
	v_mul_f32_e32 v8, 0x2f800000, v3
	v_trunc_f32_e32 v8, v8
	v_mac_f32_e32 v3, 0xcf800000, v8
	v_cvt_u32_f32_e32 v8, v8
	v_cvt_u32_f32_e32 v3, v3
	v_readfirstlane_b32 s43, v8
	v_readfirstlane_b32 s4, v3
	s_mul_i32 s5, s13, s43
	s_mul_hi_u32 s50, s13, s4
	s_mul_i32 s49, s39, s4
	s_add_i32 s5, s50, s5
	s_add_i32 s5, s5, s49
	s_mul_i32 s51, s13, s4
	s_mul_i32 s50, s4, s5
	s_mul_hi_u32 s52, s4, s51
	s_mul_hi_u32 s49, s4, s5
	s_add_u32 s50, s52, s50
	s_addc_u32 s49, 0, s49
	s_mul_hi_u32 s53, s43, s51
	s_mul_i32 s51, s43, s51
	s_add_u32 s50, s50, s51
	s_mul_hi_u32 s52, s43, s5
	s_addc_u32 s49, s49, s53
	s_addc_u32 s50, s52, 0
	s_mul_i32 s5, s43, s5
	s_add_u32 s5, s49, s5
	s_addc_u32 s49, 0, s50
	s_add_u32 s50, s4, s5
	s_cselect_b64 s[4:5], -1, 0
	s_cmp_lg_u64 s[4:5], 0
	s_addc_u32 s43, s43, s49
	s_mul_i32 s4, s13, s43
	s_mul_hi_u32 s5, s13, s50
	s_add_i32 s4, s5, s4
	s_mul_i32 s39, s39, s50
	s_add_i32 s4, s4, s39
	s_mul_i32 s13, s13, s50
	s_mul_hi_u32 s39, s43, s13
	s_mul_i32 s49, s43, s13
	s_mul_i32 s52, s50, s4
	s_mul_hi_u32 s13, s50, s13
	s_mul_hi_u32 s51, s50, s4
	s_add_u32 s13, s13, s52
	s_addc_u32 s51, 0, s51
	s_add_u32 s13, s13, s49
	s_mul_hi_u32 s5, s43, s4
	s_addc_u32 s13, s51, s39
	s_addc_u32 s5, s5, 0
	s_mul_i32 s4, s43, s4
	s_add_u32 s4, s13, s4
	s_addc_u32 s13, 0, s5
	s_add_u32 s39, s50, s4
	s_cselect_b64 s[4:5], -1, 0
	v_ashrrev_i32_e32 v3, 31, v7
	s_cmp_lg_u64 s[4:5], 0
	v_add_co_u32_e32 v8, vcc, v6, v3
	s_addc_u32 s13, s43, s13
	v_xor_b32_e32 v11, v8, v3
	v_addc_co_u32_e32 v9, vcc, v7, v3, vcc
	v_mad_u64_u32 v[7:8], s[4:5], v11, s13, 0
	v_mul_hi_u32 v10, v11, s39
	v_xor_b32_e32 v12, v9, v3
	v_xor_b32_e32 v3, s42, v3
	v_add_co_u32_e32 v13, vcc, v10, v7
	v_addc_co_u32_e32 v14, vcc, 0, v8, vcc
	v_mad_u64_u32 v[7:8], s[4:5], v12, s39, 0
	v_mad_u64_u32 v[9:10], s[4:5], v12, s13, 0
	v_add_co_u32_e32 v7, vcc, v13, v7
	v_addc_co_u32_e32 v7, vcc, v14, v8, vcc
	v_addc_co_u32_e32 v8, vcc, 0, v10, vcc
	v_add_co_u32_e32 v9, vcc, v7, v9
	v_addc_co_u32_e32 v10, vcc, 0, v8, vcc
	v_mul_lo_u32 v13, s45, v9
	v_mul_lo_u32 v14, s44, v10
	v_mad_u64_u32 v[7:8], s[4:5], s44, v9, 0
	v_add3_u32 v8, v8, v14, v13
	v_sub_u32_e32 v13, v12, v8
	v_mov_b32_e32 v14, s45
	v_sub_co_u32_e32 v7, vcc, v11, v7
	v_subb_co_u32_e64 v11, s[4:5], v13, v14, vcc
	v_subrev_co_u32_e64 v13, s[4:5], s44, v7
	v_subbrev_co_u32_e64 v11, s[4:5], 0, v11, s[4:5]
	v_cmp_le_u32_e64 s[4:5], s45, v11
	v_cndmask_b32_e64 v14, 0, -1, s[4:5]
	v_cmp_le_u32_e64 s[4:5], s44, v13
	v_cndmask_b32_e64 v13, 0, -1, s[4:5]
	v_cmp_eq_u32_e64 s[4:5], s45, v11
	v_cndmask_b32_e64 v11, v14, v13, s[4:5]
	v_add_co_u32_e64 v13, s[4:5], 2, v9
	v_subb_co_u32_e32 v8, vcc, v12, v8, vcc
	v_addc_co_u32_e64 v14, s[4:5], 0, v10, s[4:5]
	v_cmp_le_u32_e32 vcc, s45, v8
	v_add_co_u32_e64 v15, s[4:5], 1, v9
	v_cndmask_b32_e64 v12, 0, -1, vcc
	v_cmp_le_u32_e32 vcc, s44, v7
	v_addc_co_u32_e64 v16, s[4:5], 0, v10, s[4:5]
	v_cndmask_b32_e64 v7, 0, -1, vcc
	v_cmp_eq_u32_e32 vcc, s45, v8
	v_cmp_ne_u32_e64 s[4:5], 0, v11
	v_cndmask_b32_e32 v7, v12, v7, vcc
	v_cmp_ne_u32_e32 vcc, 0, v7
	v_cndmask_b32_e64 v8, v15, v13, s[4:5]
	v_cndmask_b32_e64 v11, v16, v14, s[4:5]
	v_cndmask_b32_e32 v8, v9, v8, vcc
	v_cndmask_b32_e32 v7, v10, v11, vcc
	v_xor_b32_e32 v8, v8, v3
	v_xor_b32_e32 v7, v7, v3
	v_sub_co_u32_e32 v10, vcc, v8, v3
	v_subb_co_u32_e32 v11, vcc, v7, v3, vcc
.LBB2_13:                               ;   in Loop: Header=BB2_3 Depth=1
	s_andn2_saveexec_b64 s[4:5], s[40:41]
	s_cbranch_execz .LBB2_15
; %bb.14:                               ;   in Loop: Header=BB2_3 Depth=1
	v_cvt_f32_u32_e32 v3, s16
	s_sub_i32 s13, 0, s16
	v_mov_b32_e32 v11, v2
	v_rcp_iflag_f32_e32 v3, v3
	v_mul_f32_e32 v3, 0x4f7ffffe, v3
	v_cvt_u32_f32_e32 v3, v3
	v_mul_lo_u32 v7, s13, v3
	v_mul_hi_u32 v7, v3, v7
	v_add_u32_e32 v3, v3, v7
	v_mul_hi_u32 v3, v6, v3
	v_mul_lo_u32 v7, v3, s16
	v_add_u32_e32 v8, 1, v3
	v_sub_u32_e32 v7, v6, v7
	v_subrev_u32_e32 v9, s16, v7
	v_cmp_le_u32_e32 vcc, s16, v7
	v_cndmask_b32_e32 v7, v7, v9, vcc
	v_cndmask_b32_e32 v3, v3, v8, vcc
	v_add_u32_e32 v8, 1, v3
	v_cmp_le_u32_e32 vcc, s16, v7
	v_cndmask_b32_e32 v10, v3, v8, vcc
.LBB2_15:                               ;   in Loop: Header=BB2_3 Depth=1
	s_or_b64 exec, exec, s[4:5]
	v_mul_lo_u32 v3, v6, s17
	v_mul_lo_u32 v7, v10, s16
	v_sub_u32_e32 v3, v4, v3
	v_sub_u32_e32 v6, v6, v7
	v_mul_lo_u32 v6, s20, v6
	v_mul_lo_u32 v3, s21, v3
	v_subrev_u32_e32 v12, s22, v6
	v_subrev_u32_e32 v13, s23, v3
	v_add_u32_e32 v3, s18, v12
	v_add_u32_e32 v6, s19, v13
	v_min_i32_e32 v15, s46, v3
	v_min_i32_e32 v16, s47, v6
	v_max_i32_e32 v14, 0, v12
	v_max_i32_e32 v8, 0, v13
	v_min_i32_e32 v17, s12, v15
	v_min_i32_e32 v18, s14, v16
	v_cmp_gt_i32_e32 vcc, v17, v14
	v_cmp_gt_i32_e64 s[4:5], v18, v8
	v_lshlrev_b64 v[6:7], 2, v[0:1]
	s_and_b64 s[40:41], s[4:5], vcc
	v_mov_b32_e32 v3, 0
	s_and_saveexec_b64 s[4:5], s[40:41]
	s_cbranch_execz .LBB2_2
; %bb.16:                               ;   in Loop: Header=BB2_3 Depth=1
	v_mov_b32_e32 v9, v2
	v_mad_u64_u32 v[19:20], s[40:41], s14, v14, v[8:9]
	v_mul_lo_u32 v11, s6, v11
	v_mov_b32_e32 v3, v20
	v_mad_u64_u32 v[20:21], s[40:41], s15, v14, v[3:4]
	v_mul_lo_u32 v21, s7, v10
	v_lshlrev_b64 v[3:4], 2, v[4:5]
	v_lshlrev_b64 v[19:20], 2, v[19:20]
	v_mad_u64_u32 v[9:10], s[40:41], s6, v10, v[19:20]
	v_add3_u32 v5, v21, v10, v11
	v_sub_co_u32_e32 v3, vcc, v9, v3
	v_subb_co_u32_e32 v5, vcc, v5, v4, vcc
	v_mul_lo_u32 v9, s11, v3
	v_mad_u64_u32 v[3:4], s[40:41], s10, v3, v[6:7]
	v_mul_lo_u32 v5, s10, v5
	v_mov_b32_e32 v10, s9
	v_add_co_u32_e32 v3, vcc, s8, v3
	v_add3_u32 v4, v9, v4, v5
	v_addc_co_u32_e32 v4, vcc, v10, v4, vcc
	v_mov_b32_e32 v5, 0
	s_mov_b64 s[40:41], 0
	v_mov_b32_e32 v11, v14
.LBB2_17:                               ;   Parent Loop BB2_3 Depth=1
                                        ; =>  This Loop Header: Depth=2
                                        ;       Child Loop BB2_18 Depth 3
	v_mov_b32_e32 v10, v4
	s_mov_b64 s[42:43], 0
	v_mov_b32_e32 v9, v3
	v_mov_b32_e32 v19, v8
.LBB2_18:                               ;   Parent Loop BB2_3 Depth=1
                                        ;     Parent Loop BB2_17 Depth=2
                                        ; =>    This Inner Loop Header: Depth=3
	global_load_dword v20, v[9:10], off
	v_mov_b32_e32 v21, s35
	v_add_co_u32_e32 v9, vcc, s34, v9
	v_add_u32_e32 v19, 1, v19
	v_addc_co_u32_e32 v10, vcc, v10, v21, vcc
	v_cmp_ge_i32_e32 vcc, v19, v18
	s_or_b64 s[42:43], vcc, s[42:43]
	s_waitcnt vmcnt(0)
	v_add_f32_e32 v5, v5, v20
	s_andn2_b64 exec, exec, s[42:43]
	s_cbranch_execnz .LBB2_18
; %bb.19:                               ;   in Loop: Header=BB2_17 Depth=2
	s_or_b64 exec, exec, s[42:43]
	v_add_u32_e32 v11, 1, v11
	v_cmp_ge_i32_e32 vcc, v11, v17
	v_mov_b32_e32 v9, s31
	s_or_b64 s[40:41], vcc, s[40:41]
	v_add_co_u32_e32 v3, vcc, s30, v3
	v_addc_co_u32_e32 v4, vcc, v4, v9, vcc
	s_andn2_b64 exec, exec, s[40:41]
	s_cbranch_execnz .LBB2_17
; %bb.20:                               ;   in Loop: Header=BB2_3 Depth=1
	s_or_b64 exec, exec, s[40:41]
	v_sub_u32_e32 v3, v15, v12
	v_sub_u32_e32 v4, v16, v13
	v_mul_lo_u32 v3, v3, v4
	v_sub_u32_e32 v4, v17, v14
	v_sub_u32_e32 v8, v18, v8
	v_mul_lo_u32 v4, v4, v8
	v_cndmask_b32_e64 v3, v4, v3, s[0:1]
	v_mov_b32_e32 v4, s26
	v_cndmask_b32_e64 v3, v3, v4, s[2:3]
	v_cvt_f32_i32_e32 v3, v3
	v_div_scale_f32 v4, s[40:41], v3, v3, v5
	v_div_scale_f32 v8, vcc, v5, v3, v5
	v_rcp_f32_e32 v9, v4
	v_fma_f32 v10, -v4, v9, 1.0
	v_fmac_f32_e32 v9, v10, v9
	v_mul_f32_e32 v10, v8, v9
	v_fma_f32 v11, -v4, v10, v8
	v_fmac_f32_e32 v10, v11, v9
	v_fma_f32 v4, -v4, v10, v8
	v_div_fmas_f32 v4, v4, v9, v10
	v_div_fixup_f32 v3, v4, v3, v5
	s_branch .LBB2_2
.LBB2_21:
	s_endpgm
	.section	.rodata,"a",@progbits
	.p2align	6, 0x0
	.amdhsa_kernel _ZN2at6native12_GLOBAL__N_130avg_pool2d_out_cuda_frame_nhwcIffEEviPKT_llliiiiiiiiPS3_ibb
		.amdhsa_group_segment_fixed_size 0
		.amdhsa_private_segment_fixed_size 0
		.amdhsa_kernarg_size 344
		.amdhsa_user_sgpr_count 6
		.amdhsa_user_sgpr_private_segment_buffer 1
		.amdhsa_user_sgpr_dispatch_ptr 0
		.amdhsa_user_sgpr_queue_ptr 0
		.amdhsa_user_sgpr_kernarg_segment_ptr 1
		.amdhsa_user_sgpr_dispatch_id 0
		.amdhsa_user_sgpr_flat_scratch_init 0
		.amdhsa_user_sgpr_private_segment_size 0
		.amdhsa_uses_dynamic_stack 0
		.amdhsa_system_sgpr_private_segment_wavefront_offset 0
		.amdhsa_system_sgpr_workgroup_id_x 1
		.amdhsa_system_sgpr_workgroup_id_y 0
		.amdhsa_system_sgpr_workgroup_id_z 0
		.amdhsa_system_sgpr_workgroup_info 0
		.amdhsa_system_vgpr_workitem_id 0
		.amdhsa_next_free_vgpr 22
		.amdhsa_next_free_sgpr 54
		.amdhsa_reserve_vcc 1
		.amdhsa_reserve_flat_scratch 0
		.amdhsa_float_round_mode_32 0
		.amdhsa_float_round_mode_16_64 0
		.amdhsa_float_denorm_mode_32 3
		.amdhsa_float_denorm_mode_16_64 3
		.amdhsa_dx10_clamp 1
		.amdhsa_ieee_mode 1
		.amdhsa_fp16_overflow 0
		.amdhsa_exception_fp_ieee_invalid_op 0
		.amdhsa_exception_fp_denorm_src 0
		.amdhsa_exception_fp_ieee_div_zero 0
		.amdhsa_exception_fp_ieee_overflow 0
		.amdhsa_exception_fp_ieee_underflow 0
		.amdhsa_exception_fp_ieee_inexact 0
		.amdhsa_exception_int_div_zero 0
	.end_amdhsa_kernel
	.section	.text._ZN2at6native12_GLOBAL__N_130avg_pool2d_out_cuda_frame_nhwcIffEEviPKT_llliiiiiiiiPS3_ibb,"axG",@progbits,_ZN2at6native12_GLOBAL__N_130avg_pool2d_out_cuda_frame_nhwcIffEEviPKT_llliiiiiiiiPS3_ibb,comdat
.Lfunc_end2:
	.size	_ZN2at6native12_GLOBAL__N_130avg_pool2d_out_cuda_frame_nhwcIffEEviPKT_llliiiiiiiiPS3_ibb, .Lfunc_end2-_ZN2at6native12_GLOBAL__N_130avg_pool2d_out_cuda_frame_nhwcIffEEviPKT_llliiiiiiiiPS3_ibb
                                        ; -- End function
	.set _ZN2at6native12_GLOBAL__N_130avg_pool2d_out_cuda_frame_nhwcIffEEviPKT_llliiiiiiiiPS3_ibb.num_vgpr, 22
	.set _ZN2at6native12_GLOBAL__N_130avg_pool2d_out_cuda_frame_nhwcIffEEviPKT_llliiiiiiiiPS3_ibb.num_agpr, 0
	.set _ZN2at6native12_GLOBAL__N_130avg_pool2d_out_cuda_frame_nhwcIffEEviPKT_llliiiiiiiiPS3_ibb.numbered_sgpr, 54
	.set _ZN2at6native12_GLOBAL__N_130avg_pool2d_out_cuda_frame_nhwcIffEEviPKT_llliiiiiiiiPS3_ibb.num_named_barrier, 0
	.set _ZN2at6native12_GLOBAL__N_130avg_pool2d_out_cuda_frame_nhwcIffEEviPKT_llliiiiiiiiPS3_ibb.private_seg_size, 0
	.set _ZN2at6native12_GLOBAL__N_130avg_pool2d_out_cuda_frame_nhwcIffEEviPKT_llliiiiiiiiPS3_ibb.uses_vcc, 1
	.set _ZN2at6native12_GLOBAL__N_130avg_pool2d_out_cuda_frame_nhwcIffEEviPKT_llliiiiiiiiPS3_ibb.uses_flat_scratch, 0
	.set _ZN2at6native12_GLOBAL__N_130avg_pool2d_out_cuda_frame_nhwcIffEEviPKT_llliiiiiiiiPS3_ibb.has_dyn_sized_stack, 0
	.set _ZN2at6native12_GLOBAL__N_130avg_pool2d_out_cuda_frame_nhwcIffEEviPKT_llliiiiiiiiPS3_ibb.has_recursion, 0
	.set _ZN2at6native12_GLOBAL__N_130avg_pool2d_out_cuda_frame_nhwcIffEEviPKT_llliiiiiiiiPS3_ibb.has_indirect_call, 0
	.section	.AMDGPU.csdata,"",@progbits
; Kernel info:
; codeLenInByte = 2980
; TotalNumSgprs: 58
; NumVgprs: 22
; ScratchSize: 0
; MemoryBound: 0
; FloatMode: 240
; IeeeMode: 1
; LDSByteSize: 0 bytes/workgroup (compile time only)
; SGPRBlocks: 7
; VGPRBlocks: 5
; NumSGPRsForWavesPerEU: 58
; NumVGPRsForWavesPerEU: 22
; Occupancy: 10
; WaveLimiterHint : 0
; COMPUTE_PGM_RSRC2:SCRATCH_EN: 0
; COMPUTE_PGM_RSRC2:USER_SGPR: 6
; COMPUTE_PGM_RSRC2:TRAP_HANDLER: 0
; COMPUTE_PGM_RSRC2:TGID_X_EN: 1
; COMPUTE_PGM_RSRC2:TGID_Y_EN: 0
; COMPUTE_PGM_RSRC2:TGID_Z_EN: 0
; COMPUTE_PGM_RSRC2:TIDIG_COMP_CNT: 0
	.section	.text._ZN2at6native12_GLOBAL__N_125avg_pool2d_out_cuda_frameIffEEviPKT_lllliiiiiiiPS3_ibb,"axG",@progbits,_ZN2at6native12_GLOBAL__N_125avg_pool2d_out_cuda_frameIffEEviPKT_lllliiiiiiiPS3_ibb,comdat
	.globl	_ZN2at6native12_GLOBAL__N_125avg_pool2d_out_cuda_frameIffEEviPKT_lllliiiiiiiPS3_ibb ; -- Begin function _ZN2at6native12_GLOBAL__N_125avg_pool2d_out_cuda_frameIffEEviPKT_lllliiiiiiiPS3_ibb
	.p2align	8
	.type	_ZN2at6native12_GLOBAL__N_125avg_pool2d_out_cuda_frameIffEEviPKT_lllliiiiiiiPS3_ibb,@function
_ZN2at6native12_GLOBAL__N_125avg_pool2d_out_cuda_frameIffEEviPKT_lllliiiiiiiPS3_ibb: ; @_ZN2at6native12_GLOBAL__N_125avg_pool2d_out_cuda_frameIffEEviPKT_lllliiiiiiiPS3_ibb
; %bb.0:
	s_load_dword s24, s[4:5], 0x0
	s_load_dword s0, s[4:5], 0x6c
	v_mov_b32_e32 v2, 0
	v_mov_b32_e32 v1, v2
	;; [unrolled: 1-line block ×3, first 2 shown]
	s_waitcnt lgkmcnt(0)
	s_ashr_i32 s25, s24, 31
	s_add_u32 s26, s4, 0x60
	s_addc_u32 s27, s5, 0
	s_and_b32 s30, s0, 0xffff
	v_mad_u64_u32 v[0:1], s[0:1], s30, v3, v[0:1]
	v_cmp_gt_i64_e32 vcc, s[24:25], v[0:1]
	s_and_saveexec_b64 s[0:1], vcc
	s_cbranch_execz .LBB3_13
; %bb.1:
	s_load_dwordx4 s[16:19], s[4:5], 0x50
	s_load_dword s2, s[4:5], 0x5c
	s_load_dwordx8 s[8:15], s[4:5], 0x30
	s_mov_b64 s[28:29], 0
	s_waitcnt lgkmcnt(0)
	s_bitcmp1_b32 s19, 0
	s_cselect_b64 s[0:1], -1, 0
	s_bitcmp1_b32 s2, 8
	s_cselect_b64 s[2:3], -1, 0
	s_abs_i32 s15, s8
	v_cvt_f32_u32_e32 v3, s15
	s_load_dwordx2 s[6:7], s[4:5], 0x8
	s_load_dwordx4 s[20:23], s[4:5], 0x18
	s_load_dword s19, s[26:27], 0x0
	s_ashr_i32 s43, s8, 31
	s_load_dwordx2 s[26:27], s[4:5], 0x28
	v_rcp_iflag_f32_e32 v3, v3
	s_sub_i32 s4, 0, s15
	s_waitcnt lgkmcnt(0)
	s_mul_i32 s19, s19, s30
	s_add_i32 s33, s13, s20
	v_mul_f32_e32 v3, 0x4f7ffffe, v3
	v_cvt_u32_f32_e32 v3, v3
	s_add_i32 s42, s14, s22
	s_lshl_b64 s[30:31], s[20:21], 2
	s_lshl_b64 s[34:35], s[22:23], 2
	v_mul_lo_u32 v4, s4, v3
	s_ashr_i32 s36, s27, 31
	v_mul_hi_u32 v4, v3, v4
	v_add_u32_e32 v10, v3, v4
	s_branch .LBB3_3
.LBB3_2:                                ;   in Loop: Header=BB3_3 Depth=1
	s_or_b64 exec, exec, s[4:5]
	v_lshlrev_b64 v[5:6], 2, v[0:1]
	v_add_co_u32_e32 v0, vcc, s19, v0
	v_addc_co_u32_e32 v1, vcc, 0, v1, vcc
	v_cmp_le_i64_e32 vcc, s[24:25], v[0:1]
	v_mov_b32_e32 v3, s17
	v_add_co_u32_e64 v5, s[4:5], s16, v5
	v_addc_co_u32_e64 v6, s[4:5], v3, v6, s[4:5]
	s_or_b64 s[28:29], vcc, s[28:29]
	global_store_dword v[5:6], v4, off
	s_andn2_b64 exec, exec, s[28:29]
	s_cbranch_execz .LBB3_13
.LBB3_3:                                ; =>This Loop Header: Depth=1
                                        ;     Child Loop BB3_9 Depth 2
                                        ;       Child Loop BB3_10 Depth 3
	v_sub_u32_e32 v3, 0, v0
	v_max_i32_e32 v3, v0, v3
	v_mul_hi_u32 v4, v3, v10
	v_ashrrev_i32_e32 v6, 31, v0
	v_xor_b32_e32 v6, s43, v6
	v_mul_lo_u32 v5, v4, s15
	v_add_u32_e32 v7, 1, v4
	v_sub_u32_e32 v3, v3, v5
	v_cmp_le_u32_e32 vcc, s15, v3
	v_subrev_u32_e32 v5, s15, v3
	v_cndmask_b32_e32 v4, v4, v7, vcc
	v_cndmask_b32_e32 v3, v3, v5, vcc
	v_add_u32_e32 v5, 1, v4
	v_cmp_le_u32_e32 vcc, s15, v3
	v_cndmask_b32_e32 v3, v4, v5, vcc
	v_xor_b32_e32 v3, v3, v6
	v_sub_u32_e32 v4, v3, v6
	v_ashrrev_i32_e32 v5, 31, v4
	v_or_b32_e32 v3, s27, v5
	v_cmp_ne_u64_e32 vcc, 0, v[2:3]
                                        ; implicit-def: $vgpr7_vgpr8
	s_and_saveexec_b64 s[4:5], vcc
	s_xor_b64 s[38:39], exec, s[4:5]
	s_cbranch_execz .LBB3_5
; %bb.4:                                ;   in Loop: Header=BB3_3 Depth=1
	s_add_u32 s4, s26, s36
	s_mov_b32 s37, s36
	s_addc_u32 s5, s27, s36
	s_xor_b64 s[40:41], s[4:5], s[36:37]
	v_cvt_f32_u32_e32 v3, s40
	v_cvt_f32_u32_e32 v6, s41
	s_sub_u32 s21, 0, s40
	s_subb_u32 s37, 0, s41
	v_mac_f32_e32 v3, 0x4f800000, v6
	v_rcp_f32_e32 v3, v3
	v_mul_f32_e32 v3, 0x5f7ffffc, v3
	v_mul_f32_e32 v6, 0x2f800000, v3
	v_trunc_f32_e32 v6, v6
	v_mac_f32_e32 v3, 0xcf800000, v6
	v_cvt_u32_f32_e32 v6, v6
	v_cvt_u32_f32_e32 v3, v3
	v_readfirstlane_b32 s44, v6
	v_readfirstlane_b32 s4, v3
	s_mul_i32 s5, s21, s44
	s_mul_hi_u32 s46, s21, s4
	s_mul_i32 s45, s37, s4
	s_add_i32 s5, s46, s5
	s_add_i32 s5, s5, s45
	s_mul_i32 s47, s21, s4
	s_mul_i32 s46, s4, s5
	s_mul_hi_u32 s48, s4, s47
	s_mul_hi_u32 s45, s4, s5
	s_add_u32 s46, s48, s46
	s_addc_u32 s45, 0, s45
	s_mul_hi_u32 s49, s44, s47
	s_mul_i32 s47, s44, s47
	s_add_u32 s46, s46, s47
	s_mul_hi_u32 s48, s44, s5
	s_addc_u32 s45, s45, s49
	s_addc_u32 s46, s48, 0
	s_mul_i32 s5, s44, s5
	s_add_u32 s5, s45, s5
	s_addc_u32 s45, 0, s46
	s_add_u32 s46, s4, s5
	s_cselect_b64 s[4:5], -1, 0
	s_cmp_lg_u64 s[4:5], 0
	s_addc_u32 s44, s44, s45
	s_mul_i32 s4, s21, s44
	s_mul_hi_u32 s5, s21, s46
	s_add_i32 s4, s5, s4
	s_mul_i32 s37, s37, s46
	s_add_i32 s4, s4, s37
	s_mul_i32 s21, s21, s46
	s_mul_hi_u32 s37, s44, s21
	s_mul_i32 s45, s44, s21
	s_mul_i32 s48, s46, s4
	s_mul_hi_u32 s21, s46, s21
	s_mul_hi_u32 s47, s46, s4
	s_add_u32 s21, s21, s48
	s_addc_u32 s47, 0, s47
	s_add_u32 s21, s21, s45
	s_mul_hi_u32 s5, s44, s4
	s_addc_u32 s21, s47, s37
	s_addc_u32 s5, s5, 0
	s_mul_i32 s4, s44, s4
	s_add_u32 s4, s21, s4
	s_addc_u32 s21, 0, s5
	s_add_u32 s37, s46, s4
	s_cselect_b64 s[4:5], -1, 0
	v_ashrrev_i32_e32 v3, 31, v5
	s_cmp_lg_u64 s[4:5], 0
	v_add_co_u32_e32 v6, vcc, v4, v3
	s_addc_u32 s21, s44, s21
	v_xor_b32_e32 v9, v6, v3
	v_addc_co_u32_e32 v7, vcc, v5, v3, vcc
	v_mad_u64_u32 v[5:6], s[4:5], v9, s21, 0
	v_mul_hi_u32 v8, v9, s37
	v_xor_b32_e32 v11, v7, v3
	v_xor_b32_e32 v3, s36, v3
	v_add_co_u32_e32 v12, vcc, v8, v5
	v_addc_co_u32_e32 v13, vcc, 0, v6, vcc
	v_mad_u64_u32 v[5:6], s[4:5], v11, s37, 0
	v_mad_u64_u32 v[7:8], s[4:5], v11, s21, 0
	v_add_co_u32_e32 v5, vcc, v12, v5
	v_addc_co_u32_e32 v5, vcc, v13, v6, vcc
	v_addc_co_u32_e32 v6, vcc, 0, v8, vcc
	v_add_co_u32_e32 v7, vcc, v5, v7
	v_addc_co_u32_e32 v8, vcc, 0, v6, vcc
	v_mul_lo_u32 v12, s41, v7
	v_mul_lo_u32 v13, s40, v8
	v_mad_u64_u32 v[5:6], s[4:5], s40, v7, 0
	v_add3_u32 v6, v6, v13, v12
	v_sub_u32_e32 v12, v11, v6
	v_mov_b32_e32 v13, s41
	v_sub_co_u32_e32 v5, vcc, v9, v5
	v_subb_co_u32_e64 v9, s[4:5], v12, v13, vcc
	v_subrev_co_u32_e64 v12, s[4:5], s40, v5
	v_subbrev_co_u32_e64 v9, s[4:5], 0, v9, s[4:5]
	v_cmp_le_u32_e64 s[4:5], s41, v9
	v_cndmask_b32_e64 v13, 0, -1, s[4:5]
	v_cmp_le_u32_e64 s[4:5], s40, v12
	v_cndmask_b32_e64 v12, 0, -1, s[4:5]
	v_cmp_eq_u32_e64 s[4:5], s41, v9
	v_cndmask_b32_e64 v9, v13, v12, s[4:5]
	v_add_co_u32_e64 v12, s[4:5], 2, v7
	v_subb_co_u32_e32 v6, vcc, v11, v6, vcc
	v_addc_co_u32_e64 v13, s[4:5], 0, v8, s[4:5]
	v_cmp_le_u32_e32 vcc, s41, v6
	v_add_co_u32_e64 v14, s[4:5], 1, v7
	v_cndmask_b32_e64 v11, 0, -1, vcc
	v_cmp_le_u32_e32 vcc, s40, v5
	v_addc_co_u32_e64 v15, s[4:5], 0, v8, s[4:5]
	v_cndmask_b32_e64 v5, 0, -1, vcc
	v_cmp_eq_u32_e32 vcc, s41, v6
	v_cmp_ne_u32_e64 s[4:5], 0, v9
	v_cndmask_b32_e32 v5, v11, v5, vcc
	v_cmp_ne_u32_e32 vcc, 0, v5
	v_cndmask_b32_e64 v6, v14, v12, s[4:5]
	v_cndmask_b32_e64 v9, v15, v13, s[4:5]
	v_cndmask_b32_e32 v6, v7, v6, vcc
	v_cndmask_b32_e32 v5, v8, v9, vcc
	v_xor_b32_e32 v6, v6, v3
	v_xor_b32_e32 v5, v5, v3
	v_sub_co_u32_e32 v7, vcc, v6, v3
	v_subb_co_u32_e32 v8, vcc, v5, v3, vcc
.LBB3_5:                                ;   in Loop: Header=BB3_3 Depth=1
	s_andn2_saveexec_b64 s[4:5], s[38:39]
	s_cbranch_execz .LBB3_7
; %bb.6:                                ;   in Loop: Header=BB3_3 Depth=1
	v_cvt_f32_u32_e32 v3, s26
	s_sub_i32 s21, 0, s26
	v_mov_b32_e32 v8, v2
	v_rcp_iflag_f32_e32 v3, v3
	v_mul_f32_e32 v3, 0x4f7ffffe, v3
	v_cvt_u32_f32_e32 v3, v3
	v_mul_lo_u32 v5, s21, v3
	v_mul_hi_u32 v5, v3, v5
	v_add_u32_e32 v3, v3, v5
	v_mul_hi_u32 v3, v4, v3
	v_mul_lo_u32 v5, v3, s26
	v_add_u32_e32 v6, 1, v3
	v_sub_u32_e32 v5, v4, v5
	v_subrev_u32_e32 v7, s26, v5
	v_cmp_le_u32_e32 vcc, s26, v5
	v_cndmask_b32_e32 v5, v5, v7, vcc
	v_cndmask_b32_e32 v3, v3, v6, vcc
	v_add_u32_e32 v6, 1, v3
	v_cmp_le_u32_e32 vcc, s26, v5
	v_cndmask_b32_e32 v7, v3, v6, vcc
.LBB3_7:                                ;   in Loop: Header=BB3_3 Depth=1
	s_or_b64 exec, exec, s[4:5]
	v_mul_lo_u32 v3, v4, s8
	v_mul_lo_u32 v5, v7, s26
	v_sub_u32_e32 v3, v0, v3
	v_sub_u32_e32 v4, v4, v5
	v_mul_lo_u32 v4, s11, v4
	v_mul_lo_u32 v3, v3, s12
	v_subrev_u32_e32 v11, s13, v4
	v_subrev_u32_e32 v12, s14, v3
	v_add_u32_e32 v3, s9, v11
	v_add_u32_e32 v4, s10, v12
	v_min_i32_e32 v13, s33, v3
	v_min_i32_e32 v14, s42, v4
	v_max_i32_e32 v5, 0, v11
	v_max_i32_e32 v3, 0, v12
	v_min_i32_e32 v15, s20, v13
	v_min_i32_e32 v16, s22, v14
	v_cmp_gt_i32_e32 vcc, v15, v5
	v_cmp_gt_i32_e64 s[4:5], v16, v3
	s_and_b64 s[38:39], s[4:5], vcc
	v_mov_b32_e32 v4, 0
	s_and_saveexec_b64 s[4:5], s[38:39]
	s_cbranch_execz .LBB3_2
; %bb.8:                                ;   in Loop: Header=BB3_3 Depth=1
	v_mov_b32_e32 v6, v2
	v_lshlrev_b64 v[17:18], 2, v[5:6]
	v_mul_lo_u32 v8, s30, v8
	v_mul_lo_u32 v9, s31, v7
	v_mad_u64_u32 v[6:7], s[38:39], s30, v7, v[17:18]
	v_mov_b32_e32 v4, v2
	v_mov_b32_e32 v17, v5
	v_add3_u32 v9, v9, v7, v8
	v_lshlrev_b64 v[7:8], 2, v[3:4]
	v_mul_lo_u32 v4, s22, v9
	v_mad_u64_u32 v[7:8], s[38:39], s22, v6, v[7:8]
	v_mul_lo_u32 v6, s23, v6
	s_mov_b64 s[38:39], 0
	v_add3_u32 v4, v6, v8, v4
	v_mov_b32_e32 v8, s7
	v_add_co_u32_e32 v6, vcc, s6, v7
	v_addc_co_u32_e32 v7, vcc, v8, v4, vcc
	v_mov_b32_e32 v4, 0
.LBB3_9:                                ;   Parent Loop BB3_3 Depth=1
                                        ; =>  This Loop Header: Depth=2
                                        ;       Child Loop BB3_10 Depth 3
	v_mov_b32_e32 v9, v7
	s_mov_b64 s[40:41], 0
	v_mov_b32_e32 v8, v6
	v_mov_b32_e32 v18, v3
.LBB3_10:                               ;   Parent Loop BB3_3 Depth=1
                                        ;     Parent Loop BB3_9 Depth=2
                                        ; =>    This Inner Loop Header: Depth=3
	global_load_dword v19, v[8:9], off
	v_add_co_u32_e32 v8, vcc, 4, v8
	v_add_u32_e32 v18, 1, v18
	v_addc_co_u32_e32 v9, vcc, 0, v9, vcc
	v_cmp_ge_i32_e32 vcc, v18, v16
	s_or_b64 s[40:41], vcc, s[40:41]
	s_waitcnt vmcnt(0)
	v_add_f32_e32 v4, v4, v19
	s_andn2_b64 exec, exec, s[40:41]
	s_cbranch_execnz .LBB3_10
; %bb.11:                               ;   in Loop: Header=BB3_9 Depth=2
	s_or_b64 exec, exec, s[40:41]
	v_add_u32_e32 v17, 1, v17
	v_cmp_ge_i32_e32 vcc, v17, v15
	v_mov_b32_e32 v8, s35
	s_or_b64 s[38:39], vcc, s[38:39]
	v_add_co_u32_e32 v6, vcc, s34, v6
	v_addc_co_u32_e32 v7, vcc, v7, v8, vcc
	s_andn2_b64 exec, exec, s[38:39]
	s_cbranch_execnz .LBB3_9
; %bb.12:                               ;   in Loop: Header=BB3_3 Depth=1
	s_or_b64 exec, exec, s[38:39]
	v_sub_u32_e32 v6, v13, v11
	v_sub_u32_e32 v7, v14, v12
	;; [unrolled: 1-line block ×4, first 2 shown]
	v_mul_lo_u32 v6, v6, v7
	v_mul_lo_u32 v3, v5, v3
	v_mov_b32_e32 v5, s18
	v_cndmask_b32_e64 v3, v3, v6, s[0:1]
	v_cndmask_b32_e64 v3, v3, v5, s[2:3]
	v_cvt_f32_i32_e32 v3, v3
	v_div_scale_f32 v5, s[38:39], v3, v3, v4
	v_div_scale_f32 v6, vcc, v4, v3, v4
	v_rcp_f32_e32 v7, v5
	v_fma_f32 v8, -v5, v7, 1.0
	v_fmac_f32_e32 v7, v8, v7
	v_mul_f32_e32 v8, v6, v7
	v_fma_f32 v9, -v5, v8, v6
	v_fmac_f32_e32 v8, v9, v7
	v_fma_f32 v5, -v5, v8, v6
	v_div_fmas_f32 v5, v5, v7, v8
	v_div_fixup_f32 v4, v5, v3, v4
	s_branch .LBB3_2
.LBB3_13:
	s_endpgm
	.section	.rodata,"a",@progbits
	.p2align	6, 0x0
	.amdhsa_kernel _ZN2at6native12_GLOBAL__N_125avg_pool2d_out_cuda_frameIffEEviPKT_lllliiiiiiiPS3_ibb
		.amdhsa_group_segment_fixed_size 0
		.amdhsa_private_segment_fixed_size 0
		.amdhsa_kernarg_size 352
		.amdhsa_user_sgpr_count 6
		.amdhsa_user_sgpr_private_segment_buffer 1
		.amdhsa_user_sgpr_dispatch_ptr 0
		.amdhsa_user_sgpr_queue_ptr 0
		.amdhsa_user_sgpr_kernarg_segment_ptr 1
		.amdhsa_user_sgpr_dispatch_id 0
		.amdhsa_user_sgpr_flat_scratch_init 0
		.amdhsa_user_sgpr_private_segment_size 0
		.amdhsa_uses_dynamic_stack 0
		.amdhsa_system_sgpr_private_segment_wavefront_offset 0
		.amdhsa_system_sgpr_workgroup_id_x 1
		.amdhsa_system_sgpr_workgroup_id_y 0
		.amdhsa_system_sgpr_workgroup_id_z 0
		.amdhsa_system_sgpr_workgroup_info 0
		.amdhsa_system_vgpr_workitem_id 0
		.amdhsa_next_free_vgpr 20
		.amdhsa_next_free_sgpr 50
		.amdhsa_reserve_vcc 1
		.amdhsa_reserve_flat_scratch 0
		.amdhsa_float_round_mode_32 0
		.amdhsa_float_round_mode_16_64 0
		.amdhsa_float_denorm_mode_32 3
		.amdhsa_float_denorm_mode_16_64 3
		.amdhsa_dx10_clamp 1
		.amdhsa_ieee_mode 1
		.amdhsa_fp16_overflow 0
		.amdhsa_exception_fp_ieee_invalid_op 0
		.amdhsa_exception_fp_denorm_src 0
		.amdhsa_exception_fp_ieee_div_zero 0
		.amdhsa_exception_fp_ieee_overflow 0
		.amdhsa_exception_fp_ieee_underflow 0
		.amdhsa_exception_fp_ieee_inexact 0
		.amdhsa_exception_int_div_zero 0
	.end_amdhsa_kernel
	.section	.text._ZN2at6native12_GLOBAL__N_125avg_pool2d_out_cuda_frameIffEEviPKT_lllliiiiiiiPS3_ibb,"axG",@progbits,_ZN2at6native12_GLOBAL__N_125avg_pool2d_out_cuda_frameIffEEviPKT_lllliiiiiiiPS3_ibb,comdat
.Lfunc_end3:
	.size	_ZN2at6native12_GLOBAL__N_125avg_pool2d_out_cuda_frameIffEEviPKT_lllliiiiiiiPS3_ibb, .Lfunc_end3-_ZN2at6native12_GLOBAL__N_125avg_pool2d_out_cuda_frameIffEEviPKT_lllliiiiiiiPS3_ibb
                                        ; -- End function
	.set _ZN2at6native12_GLOBAL__N_125avg_pool2d_out_cuda_frameIffEEviPKT_lllliiiiiiiPS3_ibb.num_vgpr, 20
	.set _ZN2at6native12_GLOBAL__N_125avg_pool2d_out_cuda_frameIffEEviPKT_lllliiiiiiiPS3_ibb.num_agpr, 0
	.set _ZN2at6native12_GLOBAL__N_125avg_pool2d_out_cuda_frameIffEEviPKT_lllliiiiiiiPS3_ibb.numbered_sgpr, 50
	.set _ZN2at6native12_GLOBAL__N_125avg_pool2d_out_cuda_frameIffEEviPKT_lllliiiiiiiPS3_ibb.num_named_barrier, 0
	.set _ZN2at6native12_GLOBAL__N_125avg_pool2d_out_cuda_frameIffEEviPKT_lllliiiiiiiPS3_ibb.private_seg_size, 0
	.set _ZN2at6native12_GLOBAL__N_125avg_pool2d_out_cuda_frameIffEEviPKT_lllliiiiiiiPS3_ibb.uses_vcc, 1
	.set _ZN2at6native12_GLOBAL__N_125avg_pool2d_out_cuda_frameIffEEviPKT_lllliiiiiiiPS3_ibb.uses_flat_scratch, 0
	.set _ZN2at6native12_GLOBAL__N_125avg_pool2d_out_cuda_frameIffEEviPKT_lllliiiiiiiPS3_ibb.has_dyn_sized_stack, 0
	.set _ZN2at6native12_GLOBAL__N_125avg_pool2d_out_cuda_frameIffEEviPKT_lllliiiiiiiPS3_ibb.has_recursion, 0
	.set _ZN2at6native12_GLOBAL__N_125avg_pool2d_out_cuda_frameIffEEviPKT_lllliiiiiiiPS3_ibb.has_indirect_call, 0
	.section	.AMDGPU.csdata,"",@progbits
; Kernel info:
; codeLenInByte = 1572
; TotalNumSgprs: 54
; NumVgprs: 20
; ScratchSize: 0
; MemoryBound: 0
; FloatMode: 240
; IeeeMode: 1
; LDSByteSize: 0 bytes/workgroup (compile time only)
; SGPRBlocks: 6
; VGPRBlocks: 4
; NumSGPRsForWavesPerEU: 54
; NumVGPRsForWavesPerEU: 20
; Occupancy: 10
; WaveLimiterHint : 0
; COMPUTE_PGM_RSRC2:SCRATCH_EN: 0
; COMPUTE_PGM_RSRC2:USER_SGPR: 6
; COMPUTE_PGM_RSRC2:TRAP_HANDLER: 0
; COMPUTE_PGM_RSRC2:TGID_X_EN: 1
; COMPUTE_PGM_RSRC2:TGID_Y_EN: 0
; COMPUTE_PGM_RSRC2:TGID_Z_EN: 0
; COMPUTE_PGM_RSRC2:TIDIG_COMP_CNT: 0
	.section	.text._ZN2at6native12_GLOBAL__N_130avg_pool2d_out_cuda_frame_nhwcIN3c104HalfEfEEviPKT_llliiiiiiiiPS5_ibb,"axG",@progbits,_ZN2at6native12_GLOBAL__N_130avg_pool2d_out_cuda_frame_nhwcIN3c104HalfEfEEviPKT_llliiiiiiiiPS5_ibb,comdat
	.globl	_ZN2at6native12_GLOBAL__N_130avg_pool2d_out_cuda_frame_nhwcIN3c104HalfEfEEviPKT_llliiiiiiiiPS5_ibb ; -- Begin function _ZN2at6native12_GLOBAL__N_130avg_pool2d_out_cuda_frame_nhwcIN3c104HalfEfEEviPKT_llliiiiiiiiPS5_ibb
	.p2align	8
	.type	_ZN2at6native12_GLOBAL__N_130avg_pool2d_out_cuda_frame_nhwcIN3c104HalfEfEEviPKT_llliiiiiiiiPS5_ibb,@function
_ZN2at6native12_GLOBAL__N_130avg_pool2d_out_cuda_frame_nhwcIN3c104HalfEfEEviPKT_llliiiiiiiiPS5_ibb: ; @_ZN2at6native12_GLOBAL__N_130avg_pool2d_out_cuda_frame_nhwcIN3c104HalfEfEEviPKT_llliiiiiiiiPS5_ibb
; %bb.0:
	s_load_dword s28, s[4:5], 0x0
	s_load_dword s0, s[4:5], 0x64
	v_mov_b32_e32 v2, 0
	v_mov_b32_e32 v1, v2
	;; [unrolled: 1-line block ×3, first 2 shown]
	s_waitcnt lgkmcnt(0)
	s_ashr_i32 s29, s28, 31
	s_add_u32 s30, s4, 0x58
	s_addc_u32 s31, s5, 0
	s_and_b32 s7, s0, 0xffff
	v_mad_u64_u32 v[0:1], s[0:1], s7, v3, v[0:1]
	v_cmp_gt_i64_e32 vcc, s[28:29], v[0:1]
	s_and_saveexec_b64 s[0:1], vcc
	s_cbranch_execz .LBB4_23
; %bb.1:
	s_load_dwordx4 s[24:27], s[4:5], 0x48
	s_load_dword s2, s[4:5], 0x54
	s_load_dwordx8 s[8:15], s[4:5], 0x8
	s_load_dwordx8 s[16:23], s[4:5], 0x28
	s_mov_b64 s[36:37], 0
	s_load_dword s4, s[30:31], 0x0
	s_waitcnt lgkmcnt(0)
	s_bitcmp1_b32 s27, 0
	s_cselect_b64 s[0:1], -1, 0
	s_bitcmp1_b32 s2, 8
	s_mul_hi_u32 s5, s14, s12
	s_mul_i32 s48, s4, s7
	s_mul_i32 s4, s14, s13
	s_cselect_b64 s[2:3], -1, 0
	s_add_i32 s4, s5, s4
	s_mul_i32 s5, s15, s12
	s_add_i32 s5, s4, s5
	s_mul_i32 s4, s14, s12
	s_lshl_b64 s[6:7], s[4:5], 1
	s_mul_i32 s4, s14, s11
	s_mul_hi_u32 s5, s14, s10
	s_add_i32 s4, s5, s4
	s_mul_i32 s5, s15, s10
	s_add_i32 s5, s4, s5
	s_mul_i32 s4, s14, s10
	s_ashr_i32 s27, s17, 31
	s_ashr_i32 s33, s16, 31
	s_add_i32 s46, s22, s12
	s_add_i32 s47, s23, s14
	s_lshl_b64 s[30:31], s[4:5], 1
	s_lshl_b64 s[34:35], s[10:11], 1
	s_ashr_i32 s38, s11, 31
	s_branch .LBB4_3
.LBB4_2:                                ;   in Loop: Header=BB4_3 Depth=1
	s_or_b64 exec, exec, s[4:5]
	v_add_co_u32_e32 v0, vcc, s48, v0
	v_addc_co_u32_e32 v1, vcc, 0, v1, vcc
	v_cmp_le_i64_e32 vcc, s[28:29], v[0:1]
	s_or_b64 s[36:37], vcc, s[36:37]
	s_andn2_b64 exec, exec, s[36:37]
	s_cbranch_execz .LBB4_23
.LBB4_3:                                ; =>This Loop Header: Depth=1
                                        ;     Child Loop BB4_19 Depth 2
                                        ;       Child Loop BB4_20 Depth 3
	v_or_b32_e32 v3, s11, v1
	v_cmp_ne_u64_e32 vcc, 0, v[2:3]
                                        ; implicit-def: $vgpr4_vgpr5
	s_and_saveexec_b64 s[4:5], vcc
	s_xor_b64 s[40:41], exec, s[4:5]
	s_cbranch_execz .LBB4_5
; %bb.4:                                ;   in Loop: Header=BB4_3 Depth=1
	s_add_u32 s4, s10, s38
	s_mov_b32 s39, s38
	s_addc_u32 s5, s11, s38
	s_xor_b64 s[42:43], s[4:5], s[38:39]
	v_cvt_f32_u32_e32 v3, s42
	v_cvt_f32_u32_e32 v4, s43
	s_sub_u32 s13, 0, s42
	s_subb_u32 s39, 0, s43
	v_ashrrev_i32_e32 v7, 31, v1
	v_mac_f32_e32 v3, 0x4f800000, v4
	v_rcp_f32_e32 v3, v3
	v_mul_f32_e32 v3, 0x5f7ffffc, v3
	v_mul_f32_e32 v4, 0x2f800000, v3
	v_trunc_f32_e32 v4, v4
	v_mac_f32_e32 v3, 0xcf800000, v4
	v_cvt_u32_f32_e32 v4, v4
	v_cvt_u32_f32_e32 v3, v3
	v_readfirstlane_b32 s44, v4
	v_readfirstlane_b32 s4, v3
	s_mul_i32 s5, s13, s44
	s_mul_hi_u32 s49, s13, s4
	s_mul_i32 s45, s39, s4
	s_add_i32 s5, s49, s5
	s_add_i32 s5, s5, s45
	s_mul_i32 s50, s13, s4
	s_mul_i32 s49, s4, s5
	s_mul_hi_u32 s51, s4, s50
	s_mul_hi_u32 s45, s4, s5
	s_add_u32 s49, s51, s49
	s_addc_u32 s45, 0, s45
	s_mul_hi_u32 s52, s44, s50
	s_mul_i32 s50, s44, s50
	s_add_u32 s49, s49, s50
	s_mul_hi_u32 s51, s44, s5
	s_addc_u32 s45, s45, s52
	s_addc_u32 s49, s51, 0
	s_mul_i32 s5, s44, s5
	s_add_u32 s5, s45, s5
	s_addc_u32 s45, 0, s49
	s_add_u32 s49, s4, s5
	s_cselect_b64 s[4:5], -1, 0
	s_cmp_lg_u64 s[4:5], 0
	s_addc_u32 s44, s44, s45
	s_mul_i32 s4, s13, s44
	s_mul_hi_u32 s5, s13, s49
	s_add_i32 s4, s5, s4
	s_mul_i32 s39, s39, s49
	s_add_i32 s4, s4, s39
	s_mul_i32 s13, s13, s49
	s_mul_hi_u32 s39, s44, s13
	s_mul_i32 s45, s44, s13
	s_mul_i32 s51, s49, s4
	s_mul_hi_u32 s13, s49, s13
	s_mul_hi_u32 s50, s49, s4
	s_add_u32 s13, s13, s51
	s_addc_u32 s50, 0, s50
	s_add_u32 s13, s13, s45
	s_mul_hi_u32 s5, s44, s4
	s_addc_u32 s13, s50, s39
	s_addc_u32 s5, s5, 0
	s_mul_i32 s4, s44, s4
	s_add_u32 s4, s13, s4
	s_addc_u32 s13, 0, s5
	s_add_u32 s39, s49, s4
	s_cselect_b64 s[4:5], -1, 0
	s_cmp_lg_u64 s[4:5], 0
	v_add_co_u32_e32 v3, vcc, v0, v7
	s_addc_u32 s13, s44, s13
	v_xor_b32_e32 v8, v3, v7
	v_mad_u64_u32 v[3:4], s[4:5], v8, s13, 0
	v_mul_hi_u32 v6, v8, s39
	v_addc_co_u32_e32 v5, vcc, v1, v7, vcc
	v_xor_b32_e32 v9, v5, v7
	v_add_co_u32_e32 v10, vcc, v6, v3
	v_addc_co_u32_e32 v11, vcc, 0, v4, vcc
	v_mad_u64_u32 v[3:4], s[4:5], v9, s39, 0
	v_mad_u64_u32 v[5:6], s[4:5], v9, s13, 0
	v_add_co_u32_e32 v3, vcc, v10, v3
	v_addc_co_u32_e32 v3, vcc, v11, v4, vcc
	v_addc_co_u32_e32 v4, vcc, 0, v6, vcc
	v_add_co_u32_e32 v5, vcc, v3, v5
	v_addc_co_u32_e32 v6, vcc, 0, v4, vcc
	v_mul_lo_u32 v10, s43, v5
	v_mul_lo_u32 v11, s42, v6
	v_mad_u64_u32 v[3:4], s[4:5], s42, v5, 0
	v_add3_u32 v4, v4, v11, v10
	v_sub_u32_e32 v10, v9, v4
	v_mov_b32_e32 v11, s43
	v_sub_co_u32_e32 v3, vcc, v8, v3
	v_subb_co_u32_e64 v8, s[4:5], v10, v11, vcc
	v_subrev_co_u32_e64 v10, s[4:5], s42, v3
	v_subbrev_co_u32_e64 v8, s[4:5], 0, v8, s[4:5]
	v_cmp_le_u32_e64 s[4:5], s43, v8
	v_cndmask_b32_e64 v11, 0, -1, s[4:5]
	v_cmp_le_u32_e64 s[4:5], s42, v10
	v_cndmask_b32_e64 v10, 0, -1, s[4:5]
	v_cmp_eq_u32_e64 s[4:5], s43, v8
	v_cndmask_b32_e64 v8, v11, v10, s[4:5]
	v_add_co_u32_e64 v10, s[4:5], 2, v5
	v_subb_co_u32_e32 v4, vcc, v9, v4, vcc
	v_addc_co_u32_e64 v11, s[4:5], 0, v6, s[4:5]
	v_cmp_le_u32_e32 vcc, s43, v4
	v_add_co_u32_e64 v12, s[4:5], 1, v5
	v_cndmask_b32_e64 v9, 0, -1, vcc
	v_cmp_le_u32_e32 vcc, s42, v3
	v_addc_co_u32_e64 v13, s[4:5], 0, v6, s[4:5]
	v_cndmask_b32_e64 v3, 0, -1, vcc
	v_cmp_eq_u32_e32 vcc, s43, v4
	v_cmp_ne_u32_e64 s[4:5], 0, v8
	v_cndmask_b32_e32 v3, v9, v3, vcc
	v_cmp_ne_u32_e32 vcc, 0, v3
	v_cndmask_b32_e64 v4, v12, v10, s[4:5]
	v_cndmask_b32_e64 v8, v13, v11, s[4:5]
	v_cndmask_b32_e32 v4, v5, v4, vcc
	v_xor_b32_e32 v5, s38, v7
	v_cndmask_b32_e32 v3, v6, v8, vcc
	v_xor_b32_e32 v4, v4, v5
	v_xor_b32_e32 v3, v3, v5
	v_sub_co_u32_e32 v4, vcc, v4, v5
	v_subb_co_u32_e32 v5, vcc, v3, v5, vcc
.LBB4_5:                                ;   in Loop: Header=BB4_3 Depth=1
	s_andn2_saveexec_b64 s[4:5], s[40:41]
	s_cbranch_execz .LBB4_7
; %bb.6:                                ;   in Loop: Header=BB4_3 Depth=1
	v_cvt_f32_u32_e32 v3, s10
	s_sub_i32 s13, 0, s10
	v_rcp_iflag_f32_e32 v3, v3
	v_mul_f32_e32 v3, 0x4f7ffffe, v3
	v_cvt_u32_f32_e32 v3, v3
	v_mul_lo_u32 v4, s13, v3
	v_mul_hi_u32 v4, v3, v4
	v_add_u32_e32 v3, v3, v4
	v_mul_hi_u32 v3, v0, v3
	v_mul_lo_u32 v4, v3, s10
	v_add_u32_e32 v5, 1, v3
	v_sub_u32_e32 v4, v0, v4
	v_subrev_u32_e32 v6, s10, v4
	v_cmp_le_u32_e32 vcc, s10, v4
	v_cndmask_b32_e32 v4, v4, v6, vcc
	v_cndmask_b32_e32 v3, v3, v5, vcc
	v_add_u32_e32 v5, 1, v3
	v_cmp_le_u32_e32 vcc, s10, v4
	v_cndmask_b32_e32 v4, v3, v5, vcc
	v_mov_b32_e32 v5, v2
.LBB4_7:                                ;   in Loop: Header=BB4_3 Depth=1
	s_or_b64 exec, exec, s[4:5]
	v_or_b32_e32 v3, s27, v5
	v_cmp_ne_u64_e32 vcc, 0, v[2:3]
                                        ; implicit-def: $vgpr6_vgpr7
	s_and_saveexec_b64 s[4:5], vcc
	s_xor_b64 s[40:41], exec, s[4:5]
	s_cbranch_execz .LBB4_9
; %bb.8:                                ;   in Loop: Header=BB4_3 Depth=1
	s_ashr_i32 s42, s27, 31
	s_add_u32 s4, s17, s42
	s_mov_b32 s43, s42
	s_addc_u32 s5, s27, s42
	s_xor_b64 s[44:45], s[4:5], s[42:43]
	v_cvt_f32_u32_e32 v3, s44
	v_cvt_f32_u32_e32 v6, s45
	s_sub_u32 s13, 0, s44
	s_subb_u32 s39, 0, s45
	v_mac_f32_e32 v3, 0x4f800000, v6
	v_rcp_f32_e32 v3, v3
	v_mul_f32_e32 v3, 0x5f7ffffc, v3
	v_mul_f32_e32 v6, 0x2f800000, v3
	v_trunc_f32_e32 v6, v6
	v_mac_f32_e32 v3, 0xcf800000, v6
	v_cvt_u32_f32_e32 v6, v6
	v_cvt_u32_f32_e32 v3, v3
	v_readfirstlane_b32 s43, v6
	v_readfirstlane_b32 s4, v3
	s_mul_i32 s5, s13, s43
	s_mul_hi_u32 s50, s13, s4
	s_mul_i32 s49, s39, s4
	s_add_i32 s5, s50, s5
	s_add_i32 s5, s5, s49
	s_mul_i32 s51, s13, s4
	s_mul_i32 s50, s4, s5
	s_mul_hi_u32 s52, s4, s51
	s_mul_hi_u32 s49, s4, s5
	s_add_u32 s50, s52, s50
	s_addc_u32 s49, 0, s49
	s_mul_hi_u32 s53, s43, s51
	s_mul_i32 s51, s43, s51
	s_add_u32 s50, s50, s51
	s_mul_hi_u32 s52, s43, s5
	s_addc_u32 s49, s49, s53
	s_addc_u32 s50, s52, 0
	s_mul_i32 s5, s43, s5
	s_add_u32 s5, s49, s5
	s_addc_u32 s49, 0, s50
	s_add_u32 s50, s4, s5
	s_cselect_b64 s[4:5], -1, 0
	s_cmp_lg_u64 s[4:5], 0
	s_addc_u32 s43, s43, s49
	s_mul_i32 s4, s13, s43
	s_mul_hi_u32 s5, s13, s50
	s_add_i32 s4, s5, s4
	s_mul_i32 s39, s39, s50
	s_add_i32 s4, s4, s39
	s_mul_i32 s13, s13, s50
	s_mul_hi_u32 s39, s43, s13
	s_mul_i32 s49, s43, s13
	s_mul_i32 s52, s50, s4
	s_mul_hi_u32 s13, s50, s13
	s_mul_hi_u32 s51, s50, s4
	s_add_u32 s13, s13, s52
	s_addc_u32 s51, 0, s51
	s_add_u32 s13, s13, s49
	s_mul_hi_u32 s5, s43, s4
	s_addc_u32 s13, s51, s39
	s_addc_u32 s5, s5, 0
	s_mul_i32 s4, s43, s4
	s_add_u32 s4, s13, s4
	s_addc_u32 s13, 0, s5
	s_add_u32 s39, s50, s4
	s_cselect_b64 s[4:5], -1, 0
	v_ashrrev_i32_e32 v3, 31, v5
	s_cmp_lg_u64 s[4:5], 0
	v_add_co_u32_e32 v6, vcc, v4, v3
	s_addc_u32 s13, s43, s13
	v_xor_b32_e32 v10, v6, v3
	v_mad_u64_u32 v[6:7], s[4:5], v10, s13, 0
	v_mul_hi_u32 v9, v10, s39
	v_addc_co_u32_e32 v8, vcc, v5, v3, vcc
	v_xor_b32_e32 v11, v8, v3
	v_add_co_u32_e32 v12, vcc, v9, v6
	v_addc_co_u32_e32 v13, vcc, 0, v7, vcc
	v_mad_u64_u32 v[6:7], s[4:5], v11, s39, 0
	v_mad_u64_u32 v[8:9], s[4:5], v11, s13, 0
	v_add_co_u32_e32 v6, vcc, v12, v6
	v_addc_co_u32_e32 v6, vcc, v13, v7, vcc
	v_addc_co_u32_e32 v7, vcc, 0, v9, vcc
	v_add_co_u32_e32 v8, vcc, v6, v8
	v_addc_co_u32_e32 v9, vcc, 0, v7, vcc
	v_mul_lo_u32 v12, s45, v8
	v_mul_lo_u32 v13, s44, v9
	v_mad_u64_u32 v[6:7], s[4:5], s44, v8, 0
	v_xor_b32_e32 v3, s42, v3
	v_add3_u32 v7, v7, v13, v12
	v_sub_u32_e32 v12, v11, v7
	v_mov_b32_e32 v13, s45
	v_sub_co_u32_e32 v6, vcc, v10, v6
	v_subb_co_u32_e64 v10, s[4:5], v12, v13, vcc
	v_subrev_co_u32_e64 v12, s[4:5], s44, v6
	v_subbrev_co_u32_e64 v10, s[4:5], 0, v10, s[4:5]
	v_cmp_le_u32_e64 s[4:5], s45, v10
	v_cndmask_b32_e64 v13, 0, -1, s[4:5]
	v_cmp_le_u32_e64 s[4:5], s44, v12
	v_cndmask_b32_e64 v12, 0, -1, s[4:5]
	v_cmp_eq_u32_e64 s[4:5], s45, v10
	v_cndmask_b32_e64 v10, v13, v12, s[4:5]
	v_add_co_u32_e64 v12, s[4:5], 2, v8
	v_subb_co_u32_e32 v7, vcc, v11, v7, vcc
	v_addc_co_u32_e64 v13, s[4:5], 0, v9, s[4:5]
	v_cmp_le_u32_e32 vcc, s45, v7
	v_add_co_u32_e64 v14, s[4:5], 1, v8
	v_cndmask_b32_e64 v11, 0, -1, vcc
	v_cmp_le_u32_e32 vcc, s44, v6
	v_addc_co_u32_e64 v15, s[4:5], 0, v9, s[4:5]
	v_cndmask_b32_e64 v6, 0, -1, vcc
	v_cmp_eq_u32_e32 vcc, s45, v7
	v_cmp_ne_u32_e64 s[4:5], 0, v10
	v_cndmask_b32_e32 v6, v11, v6, vcc
	v_cndmask_b32_e64 v10, v15, v13, s[4:5]
	v_cmp_ne_u32_e32 vcc, 0, v6
	v_cndmask_b32_e64 v7, v14, v12, s[4:5]
	v_cndmask_b32_e32 v6, v9, v10, vcc
	v_cndmask_b32_e32 v7, v8, v7, vcc
	v_xor_b32_e32 v8, v6, v3
	v_xor_b32_e32 v6, v7, v3
	v_sub_co_u32_e32 v6, vcc, v6, v3
	v_subb_co_u32_e32 v7, vcc, v8, v3, vcc
.LBB4_9:                                ;   in Loop: Header=BB4_3 Depth=1
	s_andn2_saveexec_b64 s[4:5], s[40:41]
	s_cbranch_execz .LBB4_11
; %bb.10:                               ;   in Loop: Header=BB4_3 Depth=1
	v_cvt_f32_u32_e32 v3, s17
	s_sub_i32 s13, 0, s17
	v_rcp_iflag_f32_e32 v3, v3
	v_mul_f32_e32 v3, 0x4f7ffffe, v3
	v_cvt_u32_f32_e32 v3, v3
	v_mul_lo_u32 v6, s13, v3
	v_mul_hi_u32 v6, v3, v6
	v_add_u32_e32 v3, v3, v6
	v_mul_hi_u32 v3, v4, v3
	v_mul_lo_u32 v6, v3, s17
	v_add_u32_e32 v7, 1, v3
	v_sub_u32_e32 v6, v4, v6
	v_subrev_u32_e32 v8, s17, v6
	v_cmp_le_u32_e32 vcc, s17, v6
	v_cndmask_b32_e32 v6, v6, v8, vcc
	v_cndmask_b32_e32 v3, v3, v7, vcc
	v_add_u32_e32 v7, 1, v3
	v_cmp_le_u32_e32 vcc, s17, v6
	v_cndmask_b32_e32 v6, v3, v7, vcc
	v_mov_b32_e32 v7, v2
.LBB4_11:                               ;   in Loop: Header=BB4_3 Depth=1
	s_or_b64 exec, exec, s[4:5]
	v_or_b32_e32 v3, s33, v7
	v_cmp_ne_u64_e32 vcc, 0, v[2:3]
                                        ; implicit-def: $vgpr10_vgpr11
	s_and_saveexec_b64 s[4:5], vcc
	s_xor_b64 s[40:41], exec, s[4:5]
	s_cbranch_execz .LBB4_13
; %bb.12:                               ;   in Loop: Header=BB4_3 Depth=1
	s_ashr_i32 s42, s33, 31
	s_add_u32 s4, s16, s42
	s_mov_b32 s43, s42
	s_addc_u32 s5, s33, s42
	s_xor_b64 s[44:45], s[4:5], s[42:43]
	v_cvt_f32_u32_e32 v3, s44
	v_cvt_f32_u32_e32 v8, s45
	s_sub_u32 s13, 0, s44
	s_subb_u32 s39, 0, s45
	v_mac_f32_e32 v3, 0x4f800000, v8
	v_rcp_f32_e32 v3, v3
	v_mul_f32_e32 v3, 0x5f7ffffc, v3
	v_mul_f32_e32 v8, 0x2f800000, v3
	v_trunc_f32_e32 v8, v8
	v_mac_f32_e32 v3, 0xcf800000, v8
	v_cvt_u32_f32_e32 v8, v8
	v_cvt_u32_f32_e32 v3, v3
	v_readfirstlane_b32 s43, v8
	v_readfirstlane_b32 s4, v3
	s_mul_i32 s5, s13, s43
	s_mul_hi_u32 s50, s13, s4
	s_mul_i32 s49, s39, s4
	s_add_i32 s5, s50, s5
	s_add_i32 s5, s5, s49
	s_mul_i32 s51, s13, s4
	s_mul_i32 s50, s4, s5
	s_mul_hi_u32 s52, s4, s51
	s_mul_hi_u32 s49, s4, s5
	s_add_u32 s50, s52, s50
	s_addc_u32 s49, 0, s49
	s_mul_hi_u32 s53, s43, s51
	s_mul_i32 s51, s43, s51
	s_add_u32 s50, s50, s51
	s_mul_hi_u32 s52, s43, s5
	s_addc_u32 s49, s49, s53
	s_addc_u32 s50, s52, 0
	s_mul_i32 s5, s43, s5
	s_add_u32 s5, s49, s5
	s_addc_u32 s49, 0, s50
	s_add_u32 s50, s4, s5
	s_cselect_b64 s[4:5], -1, 0
	s_cmp_lg_u64 s[4:5], 0
	s_addc_u32 s43, s43, s49
	s_mul_i32 s4, s13, s43
	s_mul_hi_u32 s5, s13, s50
	s_add_i32 s4, s5, s4
	s_mul_i32 s39, s39, s50
	s_add_i32 s4, s4, s39
	s_mul_i32 s13, s13, s50
	s_mul_hi_u32 s39, s43, s13
	s_mul_i32 s49, s43, s13
	s_mul_i32 s52, s50, s4
	s_mul_hi_u32 s13, s50, s13
	s_mul_hi_u32 s51, s50, s4
	s_add_u32 s13, s13, s52
	s_addc_u32 s51, 0, s51
	s_add_u32 s13, s13, s49
	s_mul_hi_u32 s5, s43, s4
	s_addc_u32 s13, s51, s39
	s_addc_u32 s5, s5, 0
	s_mul_i32 s4, s43, s4
	s_add_u32 s4, s13, s4
	s_addc_u32 s13, 0, s5
	s_add_u32 s39, s50, s4
	s_cselect_b64 s[4:5], -1, 0
	v_ashrrev_i32_e32 v3, 31, v7
	s_cmp_lg_u64 s[4:5], 0
	v_add_co_u32_e32 v8, vcc, v6, v3
	s_addc_u32 s13, s43, s13
	v_xor_b32_e32 v11, v8, v3
	v_addc_co_u32_e32 v9, vcc, v7, v3, vcc
	v_mad_u64_u32 v[7:8], s[4:5], v11, s13, 0
	v_mul_hi_u32 v10, v11, s39
	v_xor_b32_e32 v12, v9, v3
	v_xor_b32_e32 v3, s42, v3
	v_add_co_u32_e32 v13, vcc, v10, v7
	v_addc_co_u32_e32 v14, vcc, 0, v8, vcc
	v_mad_u64_u32 v[7:8], s[4:5], v12, s39, 0
	v_mad_u64_u32 v[9:10], s[4:5], v12, s13, 0
	v_add_co_u32_e32 v7, vcc, v13, v7
	v_addc_co_u32_e32 v7, vcc, v14, v8, vcc
	v_addc_co_u32_e32 v8, vcc, 0, v10, vcc
	v_add_co_u32_e32 v9, vcc, v7, v9
	v_addc_co_u32_e32 v10, vcc, 0, v8, vcc
	v_mul_lo_u32 v13, s45, v9
	v_mul_lo_u32 v14, s44, v10
	v_mad_u64_u32 v[7:8], s[4:5], s44, v9, 0
	v_add3_u32 v8, v8, v14, v13
	v_sub_u32_e32 v13, v12, v8
	v_mov_b32_e32 v14, s45
	v_sub_co_u32_e32 v7, vcc, v11, v7
	v_subb_co_u32_e64 v11, s[4:5], v13, v14, vcc
	v_subrev_co_u32_e64 v13, s[4:5], s44, v7
	v_subbrev_co_u32_e64 v11, s[4:5], 0, v11, s[4:5]
	v_cmp_le_u32_e64 s[4:5], s45, v11
	v_cndmask_b32_e64 v14, 0, -1, s[4:5]
	v_cmp_le_u32_e64 s[4:5], s44, v13
	v_cndmask_b32_e64 v13, 0, -1, s[4:5]
	v_cmp_eq_u32_e64 s[4:5], s45, v11
	v_cndmask_b32_e64 v11, v14, v13, s[4:5]
	v_add_co_u32_e64 v13, s[4:5], 2, v9
	v_subb_co_u32_e32 v8, vcc, v12, v8, vcc
	v_addc_co_u32_e64 v14, s[4:5], 0, v10, s[4:5]
	v_cmp_le_u32_e32 vcc, s45, v8
	v_add_co_u32_e64 v15, s[4:5], 1, v9
	v_cndmask_b32_e64 v12, 0, -1, vcc
	v_cmp_le_u32_e32 vcc, s44, v7
	v_addc_co_u32_e64 v16, s[4:5], 0, v10, s[4:5]
	v_cndmask_b32_e64 v7, 0, -1, vcc
	v_cmp_eq_u32_e32 vcc, s45, v8
	v_cmp_ne_u32_e64 s[4:5], 0, v11
	v_cndmask_b32_e32 v7, v12, v7, vcc
	v_cmp_ne_u32_e32 vcc, 0, v7
	v_cndmask_b32_e64 v8, v15, v13, s[4:5]
	v_cndmask_b32_e64 v11, v16, v14, s[4:5]
	v_cndmask_b32_e32 v8, v9, v8, vcc
	v_cndmask_b32_e32 v7, v10, v11, vcc
	v_xor_b32_e32 v8, v8, v3
	v_xor_b32_e32 v7, v7, v3
	v_sub_co_u32_e32 v10, vcc, v8, v3
	v_subb_co_u32_e32 v11, vcc, v7, v3, vcc
.LBB4_13:                               ;   in Loop: Header=BB4_3 Depth=1
	s_andn2_saveexec_b64 s[4:5], s[40:41]
	s_cbranch_execz .LBB4_15
; %bb.14:                               ;   in Loop: Header=BB4_3 Depth=1
	v_cvt_f32_u32_e32 v3, s16
	s_sub_i32 s13, 0, s16
	v_mov_b32_e32 v11, v2
	v_rcp_iflag_f32_e32 v3, v3
	v_mul_f32_e32 v3, 0x4f7ffffe, v3
	v_cvt_u32_f32_e32 v3, v3
	v_mul_lo_u32 v7, s13, v3
	v_mul_hi_u32 v7, v3, v7
	v_add_u32_e32 v3, v3, v7
	v_mul_hi_u32 v3, v6, v3
	v_mul_lo_u32 v7, v3, s16
	v_add_u32_e32 v8, 1, v3
	v_sub_u32_e32 v7, v6, v7
	v_subrev_u32_e32 v9, s16, v7
	v_cmp_le_u32_e32 vcc, s16, v7
	v_cndmask_b32_e32 v7, v7, v9, vcc
	v_cndmask_b32_e32 v3, v3, v8, vcc
	v_add_u32_e32 v8, 1, v3
	v_cmp_le_u32_e32 vcc, s16, v7
	v_cndmask_b32_e32 v10, v3, v8, vcc
.LBB4_15:                               ;   in Loop: Header=BB4_3 Depth=1
	s_or_b64 exec, exec, s[4:5]
	v_mul_lo_u32 v3, v6, s17
	v_mul_lo_u32 v7, v10, s16
	v_sub_u32_e32 v3, v4, v3
	v_sub_u32_e32 v6, v6, v7
	v_mul_lo_u32 v6, s20, v6
	v_mul_lo_u32 v3, s21, v3
	v_subrev_u32_e32 v12, s22, v6
	v_subrev_u32_e32 v13, s23, v3
	v_add_u32_e32 v3, s18, v12
	v_add_u32_e32 v6, s19, v13
	v_min_i32_e32 v14, s46, v3
	v_min_i32_e32 v15, s47, v6
	v_max_i32_e32 v16, 0, v12
	v_max_i32_e32 v8, 0, v13
	v_min_i32_e32 v17, s12, v14
	v_min_i32_e32 v18, s14, v15
	v_cmp_le_i32_e32 vcc, v17, v16
	v_cmp_le_i32_e64 s[4:5], v18, v8
	v_lshlrev_b64 v[6:7], 1, v[0:1]
	s_or_b64 s[4:5], s[4:5], vcc
	s_and_saveexec_b64 s[40:41], s[4:5]
	s_xor_b64 s[4:5], exec, s[40:41]
	s_cbranch_execz .LBB4_17
; %bb.16:                               ;   in Loop: Header=BB4_3 Depth=1
	v_mov_b32_e32 v4, s25
	v_add_co_u32_e32 v3, vcc, s24, v6
	v_addc_co_u32_e32 v4, vcc, v4, v7, vcc
	global_store_short v[3:4], v2, off
                                        ; implicit-def: $vgpr4_vgpr5
                                        ; implicit-def: $vgpr10_vgpr11
                                        ; implicit-def: $vgpr12
                                        ; implicit-def: $vgpr13
                                        ; implicit-def: $vgpr14
                                        ; implicit-def: $vgpr15
                                        ; implicit-def: $vgpr16
                                        ; implicit-def: $vgpr8
                                        ; implicit-def: $vgpr17
                                        ; implicit-def: $vgpr18
                                        ; implicit-def: $vgpr6_vgpr7
.LBB4_17:                               ;   in Loop: Header=BB4_3 Depth=1
	s_andn2_saveexec_b64 s[4:5], s[4:5]
	s_cbranch_execz .LBB4_2
; %bb.18:                               ;   in Loop: Header=BB4_3 Depth=1
	v_mov_b32_e32 v9, v2
	v_mad_u64_u32 v[19:20], s[40:41], s14, v16, v[8:9]
	v_mul_lo_u32 v11, s6, v11
	v_mov_b32_e32 v3, v20
	v_mad_u64_u32 v[20:21], s[40:41], s15, v16, v[3:4]
	v_mul_lo_u32 v21, s7, v10
	v_lshlrev_b64 v[3:4], 1, v[4:5]
	v_lshlrev_b64 v[19:20], 1, v[19:20]
	v_mad_u64_u32 v[9:10], s[40:41], s6, v10, v[19:20]
	v_add3_u32 v5, v21, v10, v11
	v_sub_co_u32_e32 v3, vcc, v9, v3
	v_subb_co_u32_e32 v5, vcc, v5, v4, vcc
	v_mul_lo_u32 v9, s11, v3
	v_mad_u64_u32 v[3:4], s[40:41], s10, v3, v[6:7]
	v_mul_lo_u32 v5, s10, v5
	v_mov_b32_e32 v10, s9
	v_add_co_u32_e32 v3, vcc, s8, v3
	v_add3_u32 v4, v9, v4, v5
	v_addc_co_u32_e32 v4, vcc, v10, v4, vcc
	v_mov_b32_e32 v5, 0
	s_mov_b64 s[40:41], 0
	v_mov_b32_e32 v11, v16
.LBB4_19:                               ;   Parent Loop BB4_3 Depth=1
                                        ; =>  This Loop Header: Depth=2
                                        ;       Child Loop BB4_20 Depth 3
	v_mov_b32_e32 v10, v4
	s_mov_b64 s[42:43], 0
	v_mov_b32_e32 v9, v3
	v_mov_b32_e32 v19, v8
.LBB4_20:                               ;   Parent Loop BB4_3 Depth=1
                                        ;     Parent Loop BB4_19 Depth=2
                                        ; =>    This Inner Loop Header: Depth=3
	global_load_ushort v20, v[9:10], off
	v_mov_b32_e32 v21, s35
	v_add_co_u32_e32 v9, vcc, s34, v9
	v_add_u32_e32 v19, 1, v19
	v_addc_co_u32_e32 v10, vcc, v10, v21, vcc
	v_cmp_ge_i32_e32 vcc, v19, v18
	s_or_b64 s[42:43], vcc, s[42:43]
	s_waitcnt vmcnt(0)
	v_cvt_f32_f16_e32 v20, v20
	v_add_f32_e32 v5, v5, v20
	s_andn2_b64 exec, exec, s[42:43]
	s_cbranch_execnz .LBB4_20
; %bb.21:                               ;   in Loop: Header=BB4_19 Depth=2
	s_or_b64 exec, exec, s[42:43]
	v_add_u32_e32 v11, 1, v11
	v_cmp_ge_i32_e32 vcc, v11, v17
	v_mov_b32_e32 v9, s31
	s_or_b64 s[40:41], vcc, s[40:41]
	v_add_co_u32_e32 v3, vcc, s30, v3
	v_addc_co_u32_e32 v4, vcc, v4, v9, vcc
	s_andn2_b64 exec, exec, s[40:41]
	s_cbranch_execnz .LBB4_19
; %bb.22:                               ;   in Loop: Header=BB4_3 Depth=1
	s_or_b64 exec, exec, s[40:41]
	v_sub_u32_e32 v3, v14, v12
	v_sub_u32_e32 v4, v15, v13
	v_mul_lo_u32 v3, v3, v4
	v_sub_u32_e32 v4, v17, v16
	v_sub_u32_e32 v8, v18, v8
	v_mul_lo_u32 v4, v4, v8
	v_cndmask_b32_e64 v3, v4, v3, s[0:1]
	v_mov_b32_e32 v4, s26
	v_cndmask_b32_e64 v3, v3, v4, s[2:3]
	v_cvt_f32_i32_e32 v3, v3
	v_div_scale_f32 v4, s[40:41], v3, v3, v5
	v_div_scale_f32 v8, vcc, v5, v3, v5
	v_rcp_f32_e32 v9, v4
	v_fma_f32 v10, -v4, v9, 1.0
	v_fmac_f32_e32 v9, v10, v9
	v_mul_f32_e32 v10, v8, v9
	v_fma_f32 v11, -v4, v10, v8
	v_fmac_f32_e32 v10, v11, v9
	v_fma_f32 v4, -v4, v10, v8
	v_div_fmas_f32 v4, v4, v9, v10
	v_mov_b32_e32 v8, s25
	v_div_fixup_f32 v3, v4, v3, v5
	v_cvt_f16_f32_e32 v5, v3
	v_add_co_u32_e32 v3, vcc, s24, v6
	v_addc_co_u32_e32 v4, vcc, v8, v7, vcc
	global_store_short v[3:4], v5, off
	s_branch .LBB4_2
.LBB4_23:
	s_endpgm
	.section	.rodata,"a",@progbits
	.p2align	6, 0x0
	.amdhsa_kernel _ZN2at6native12_GLOBAL__N_130avg_pool2d_out_cuda_frame_nhwcIN3c104HalfEfEEviPKT_llliiiiiiiiPS5_ibb
		.amdhsa_group_segment_fixed_size 0
		.amdhsa_private_segment_fixed_size 0
		.amdhsa_kernarg_size 344
		.amdhsa_user_sgpr_count 6
		.amdhsa_user_sgpr_private_segment_buffer 1
		.amdhsa_user_sgpr_dispatch_ptr 0
		.amdhsa_user_sgpr_queue_ptr 0
		.amdhsa_user_sgpr_kernarg_segment_ptr 1
		.amdhsa_user_sgpr_dispatch_id 0
		.amdhsa_user_sgpr_flat_scratch_init 0
		.amdhsa_user_sgpr_private_segment_size 0
		.amdhsa_uses_dynamic_stack 0
		.amdhsa_system_sgpr_private_segment_wavefront_offset 0
		.amdhsa_system_sgpr_workgroup_id_x 1
		.amdhsa_system_sgpr_workgroup_id_y 0
		.amdhsa_system_sgpr_workgroup_id_z 0
		.amdhsa_system_sgpr_workgroup_info 0
		.amdhsa_system_vgpr_workitem_id 0
		.amdhsa_next_free_vgpr 22
		.amdhsa_next_free_sgpr 54
		.amdhsa_reserve_vcc 1
		.amdhsa_reserve_flat_scratch 0
		.amdhsa_float_round_mode_32 0
		.amdhsa_float_round_mode_16_64 0
		.amdhsa_float_denorm_mode_32 3
		.amdhsa_float_denorm_mode_16_64 3
		.amdhsa_dx10_clamp 1
		.amdhsa_ieee_mode 1
		.amdhsa_fp16_overflow 0
		.amdhsa_exception_fp_ieee_invalid_op 0
		.amdhsa_exception_fp_denorm_src 0
		.amdhsa_exception_fp_ieee_div_zero 0
		.amdhsa_exception_fp_ieee_overflow 0
		.amdhsa_exception_fp_ieee_underflow 0
		.amdhsa_exception_fp_ieee_inexact 0
		.amdhsa_exception_int_div_zero 0
	.end_amdhsa_kernel
	.section	.text._ZN2at6native12_GLOBAL__N_130avg_pool2d_out_cuda_frame_nhwcIN3c104HalfEfEEviPKT_llliiiiiiiiPS5_ibb,"axG",@progbits,_ZN2at6native12_GLOBAL__N_130avg_pool2d_out_cuda_frame_nhwcIN3c104HalfEfEEviPKT_llliiiiiiiiPS5_ibb,comdat
.Lfunc_end4:
	.size	_ZN2at6native12_GLOBAL__N_130avg_pool2d_out_cuda_frame_nhwcIN3c104HalfEfEEviPKT_llliiiiiiiiPS5_ibb, .Lfunc_end4-_ZN2at6native12_GLOBAL__N_130avg_pool2d_out_cuda_frame_nhwcIN3c104HalfEfEEviPKT_llliiiiiiiiPS5_ibb
                                        ; -- End function
	.set _ZN2at6native12_GLOBAL__N_130avg_pool2d_out_cuda_frame_nhwcIN3c104HalfEfEEviPKT_llliiiiiiiiPS5_ibb.num_vgpr, 22
	.set _ZN2at6native12_GLOBAL__N_130avg_pool2d_out_cuda_frame_nhwcIN3c104HalfEfEEviPKT_llliiiiiiiiPS5_ibb.num_agpr, 0
	.set _ZN2at6native12_GLOBAL__N_130avg_pool2d_out_cuda_frame_nhwcIN3c104HalfEfEEviPKT_llliiiiiiiiPS5_ibb.numbered_sgpr, 54
	.set _ZN2at6native12_GLOBAL__N_130avg_pool2d_out_cuda_frame_nhwcIN3c104HalfEfEEviPKT_llliiiiiiiiPS5_ibb.num_named_barrier, 0
	.set _ZN2at6native12_GLOBAL__N_130avg_pool2d_out_cuda_frame_nhwcIN3c104HalfEfEEviPKT_llliiiiiiiiPS5_ibb.private_seg_size, 0
	.set _ZN2at6native12_GLOBAL__N_130avg_pool2d_out_cuda_frame_nhwcIN3c104HalfEfEEviPKT_llliiiiiiiiPS5_ibb.uses_vcc, 1
	.set _ZN2at6native12_GLOBAL__N_130avg_pool2d_out_cuda_frame_nhwcIN3c104HalfEfEEviPKT_llliiiiiiiiPS5_ibb.uses_flat_scratch, 0
	.set _ZN2at6native12_GLOBAL__N_130avg_pool2d_out_cuda_frame_nhwcIN3c104HalfEfEEviPKT_llliiiiiiiiPS5_ibb.has_dyn_sized_stack, 0
	.set _ZN2at6native12_GLOBAL__N_130avg_pool2d_out_cuda_frame_nhwcIN3c104HalfEfEEviPKT_llliiiiiiiiPS5_ibb.has_recursion, 0
	.set _ZN2at6native12_GLOBAL__N_130avg_pool2d_out_cuda_frame_nhwcIN3c104HalfEfEEviPKT_llliiiiiiiiPS5_ibb.has_indirect_call, 0
	.section	.AMDGPU.csdata,"",@progbits
; Kernel info:
; codeLenInByte = 3008
; TotalNumSgprs: 58
; NumVgprs: 22
; ScratchSize: 0
; MemoryBound: 0
; FloatMode: 240
; IeeeMode: 1
; LDSByteSize: 0 bytes/workgroup (compile time only)
; SGPRBlocks: 7
; VGPRBlocks: 5
; NumSGPRsForWavesPerEU: 58
; NumVGPRsForWavesPerEU: 22
; Occupancy: 10
; WaveLimiterHint : 0
; COMPUTE_PGM_RSRC2:SCRATCH_EN: 0
; COMPUTE_PGM_RSRC2:USER_SGPR: 6
; COMPUTE_PGM_RSRC2:TRAP_HANDLER: 0
; COMPUTE_PGM_RSRC2:TGID_X_EN: 1
; COMPUTE_PGM_RSRC2:TGID_Y_EN: 0
; COMPUTE_PGM_RSRC2:TGID_Z_EN: 0
; COMPUTE_PGM_RSRC2:TIDIG_COMP_CNT: 0
	.section	.text._ZN2at6native12_GLOBAL__N_125avg_pool2d_out_cuda_frameIN3c104HalfEfEEviPKT_lllliiiiiiiPS5_ibb,"axG",@progbits,_ZN2at6native12_GLOBAL__N_125avg_pool2d_out_cuda_frameIN3c104HalfEfEEviPKT_lllliiiiiiiPS5_ibb,comdat
	.globl	_ZN2at6native12_GLOBAL__N_125avg_pool2d_out_cuda_frameIN3c104HalfEfEEviPKT_lllliiiiiiiPS5_ibb ; -- Begin function _ZN2at6native12_GLOBAL__N_125avg_pool2d_out_cuda_frameIN3c104HalfEfEEviPKT_lllliiiiiiiPS5_ibb
	.p2align	8
	.type	_ZN2at6native12_GLOBAL__N_125avg_pool2d_out_cuda_frameIN3c104HalfEfEEviPKT_lllliiiiiiiPS5_ibb,@function
_ZN2at6native12_GLOBAL__N_125avg_pool2d_out_cuda_frameIN3c104HalfEfEEviPKT_lllliiiiiiiPS5_ibb: ; @_ZN2at6native12_GLOBAL__N_125avg_pool2d_out_cuda_frameIN3c104HalfEfEEviPKT_lllliiiiiiiPS5_ibb
; %bb.0:
	s_load_dword s24, s[4:5], 0x0
	s_load_dword s0, s[4:5], 0x6c
	v_mov_b32_e32 v2, 0
	v_mov_b32_e32 v1, v2
	;; [unrolled: 1-line block ×3, first 2 shown]
	s_waitcnt lgkmcnt(0)
	s_ashr_i32 s25, s24, 31
	s_add_u32 s26, s4, 0x60
	s_addc_u32 s27, s5, 0
	s_and_b32 s30, s0, 0xffff
	v_mad_u64_u32 v[0:1], s[0:1], s30, v3, v[0:1]
	v_cmp_gt_i64_e32 vcc, s[24:25], v[0:1]
	s_and_saveexec_b64 s[0:1], vcc
	s_cbranch_execz .LBB5_15
; %bb.1:
	s_load_dwordx4 s[16:19], s[4:5], 0x50
	s_load_dword s2, s[4:5], 0x5c
	s_load_dwordx8 s[8:15], s[4:5], 0x30
	s_mov_b64 s[28:29], 0
	s_waitcnt lgkmcnt(0)
	s_bitcmp1_b32 s19, 0
	s_cselect_b64 s[0:1], -1, 0
	s_bitcmp1_b32 s2, 8
	s_cselect_b64 s[2:3], -1, 0
	s_abs_i32 s15, s8
	v_cvt_f32_u32_e32 v3, s15
	s_load_dwordx2 s[6:7], s[4:5], 0x8
	s_load_dwordx4 s[20:23], s[4:5], 0x18
	s_load_dword s19, s[26:27], 0x0
	s_ashr_i32 s43, s8, 31
	s_load_dwordx2 s[26:27], s[4:5], 0x28
	v_rcp_iflag_f32_e32 v3, v3
	s_sub_i32 s4, 0, s15
	s_waitcnt lgkmcnt(0)
	s_mul_i32 s19, s19, s30
	s_add_i32 s33, s13, s20
	v_mul_f32_e32 v3, 0x4f7ffffe, v3
	v_cvt_u32_f32_e32 v3, v3
	s_add_i32 s42, s14, s22
	s_lshl_b64 s[30:31], s[20:21], 1
	s_lshl_b64 s[34:35], s[22:23], 1
	v_mul_lo_u32 v4, s4, v3
	s_ashr_i32 s36, s27, 31
	v_mul_hi_u32 v4, v3, v4
	v_add_u32_e32 v9, v3, v4
	s_branch .LBB5_3
.LBB5_2:                                ;   in Loop: Header=BB5_3 Depth=1
	s_or_b64 exec, exec, s[4:5]
	v_add_co_u32_e32 v0, vcc, s19, v0
	v_addc_co_u32_e32 v1, vcc, 0, v1, vcc
	v_cmp_le_i64_e32 vcc, s[24:25], v[0:1]
	s_or_b64 s[28:29], vcc, s[28:29]
	s_andn2_b64 exec, exec, s[28:29]
	s_cbranch_execz .LBB5_15
.LBB5_3:                                ; =>This Loop Header: Depth=1
                                        ;     Child Loop BB5_11 Depth 2
                                        ;       Child Loop BB5_12 Depth 3
	v_sub_u32_e32 v3, 0, v0
	v_max_i32_e32 v3, v0, v3
	v_mul_hi_u32 v4, v3, v9
	v_ashrrev_i32_e32 v6, 31, v0
	v_xor_b32_e32 v6, s43, v6
	v_mul_lo_u32 v5, v4, s15
	v_add_u32_e32 v7, 1, v4
	v_sub_u32_e32 v3, v3, v5
	v_cmp_le_u32_e32 vcc, s15, v3
	v_subrev_u32_e32 v5, s15, v3
	v_cndmask_b32_e32 v4, v4, v7, vcc
	v_cndmask_b32_e32 v3, v3, v5, vcc
	v_add_u32_e32 v5, 1, v4
	v_cmp_le_u32_e32 vcc, s15, v3
	v_cndmask_b32_e32 v3, v4, v5, vcc
	v_xor_b32_e32 v3, v3, v6
	v_sub_u32_e32 v4, v3, v6
	v_ashrrev_i32_e32 v7, 31, v4
	v_or_b32_e32 v3, s27, v7
	v_cmp_ne_u64_e32 vcc, 0, v[2:3]
                                        ; implicit-def: $vgpr5_vgpr6
	s_and_saveexec_b64 s[4:5], vcc
	s_xor_b64 s[38:39], exec, s[4:5]
	s_cbranch_execz .LBB5_5
; %bb.4:                                ;   in Loop: Header=BB5_3 Depth=1
	s_add_u32 s4, s26, s36
	s_mov_b32 s37, s36
	s_addc_u32 s5, s27, s36
	s_xor_b64 s[40:41], s[4:5], s[36:37]
	v_cvt_f32_u32_e32 v3, s40
	v_cvt_f32_u32_e32 v5, s41
	s_sub_u32 s21, 0, s40
	s_subb_u32 s37, 0, s41
	v_mac_f32_e32 v3, 0x4f800000, v5
	v_rcp_f32_e32 v3, v3
	v_mul_f32_e32 v3, 0x5f7ffffc, v3
	v_mul_f32_e32 v5, 0x2f800000, v3
	v_trunc_f32_e32 v5, v5
	v_mac_f32_e32 v3, 0xcf800000, v5
	v_cvt_u32_f32_e32 v5, v5
	v_cvt_u32_f32_e32 v3, v3
	v_readfirstlane_b32 s44, v5
	v_readfirstlane_b32 s4, v3
	s_mul_i32 s5, s21, s44
	s_mul_hi_u32 s46, s21, s4
	s_mul_i32 s45, s37, s4
	s_add_i32 s5, s46, s5
	s_add_i32 s5, s5, s45
	s_mul_i32 s47, s21, s4
	s_mul_i32 s46, s4, s5
	s_mul_hi_u32 s48, s4, s47
	s_mul_hi_u32 s45, s4, s5
	s_add_u32 s46, s48, s46
	s_addc_u32 s45, 0, s45
	s_mul_hi_u32 s49, s44, s47
	s_mul_i32 s47, s44, s47
	s_add_u32 s46, s46, s47
	s_mul_hi_u32 s48, s44, s5
	s_addc_u32 s45, s45, s49
	s_addc_u32 s46, s48, 0
	s_mul_i32 s5, s44, s5
	s_add_u32 s5, s45, s5
	s_addc_u32 s45, 0, s46
	s_add_u32 s46, s4, s5
	s_cselect_b64 s[4:5], -1, 0
	s_cmp_lg_u64 s[4:5], 0
	s_addc_u32 s44, s44, s45
	s_mul_i32 s4, s21, s44
	s_mul_hi_u32 s5, s21, s46
	s_add_i32 s4, s5, s4
	s_mul_i32 s37, s37, s46
	s_add_i32 s4, s4, s37
	s_mul_i32 s21, s21, s46
	s_mul_hi_u32 s37, s44, s21
	s_mul_i32 s45, s44, s21
	s_mul_i32 s48, s46, s4
	s_mul_hi_u32 s21, s46, s21
	s_mul_hi_u32 s47, s46, s4
	s_add_u32 s21, s21, s48
	s_addc_u32 s47, 0, s47
	s_add_u32 s21, s21, s45
	s_mul_hi_u32 s5, s44, s4
	s_addc_u32 s21, s47, s37
	s_addc_u32 s5, s5, 0
	s_mul_i32 s4, s44, s4
	s_add_u32 s4, s21, s4
	s_addc_u32 s21, 0, s5
	s_add_u32 s37, s46, s4
	s_cselect_b64 s[4:5], -1, 0
	v_ashrrev_i32_e32 v3, 31, v7
	s_cmp_lg_u64 s[4:5], 0
	v_add_co_u32_e32 v5, vcc, v4, v3
	s_addc_u32 s21, s44, s21
	v_xor_b32_e32 v10, v5, v3
	v_mad_u64_u32 v[5:6], s[4:5], v10, s21, 0
	v_mul_hi_u32 v8, v10, s37
	v_addc_co_u32_e32 v7, vcc, v7, v3, vcc
	v_xor_b32_e32 v11, v7, v3
	v_add_co_u32_e32 v12, vcc, v8, v5
	v_addc_co_u32_e32 v13, vcc, 0, v6, vcc
	v_mad_u64_u32 v[5:6], s[4:5], v11, s37, 0
	v_mad_u64_u32 v[7:8], s[4:5], v11, s21, 0
	v_add_co_u32_e32 v5, vcc, v12, v5
	v_addc_co_u32_e32 v5, vcc, v13, v6, vcc
	v_addc_co_u32_e32 v6, vcc, 0, v8, vcc
	v_add_co_u32_e32 v7, vcc, v5, v7
	v_addc_co_u32_e32 v8, vcc, 0, v6, vcc
	v_mul_lo_u32 v12, s41, v7
	v_mul_lo_u32 v13, s40, v8
	v_mad_u64_u32 v[5:6], s[4:5], s40, v7, 0
	v_xor_b32_e32 v3, s36, v3
	v_add3_u32 v6, v6, v13, v12
	v_sub_u32_e32 v12, v11, v6
	v_mov_b32_e32 v13, s41
	v_sub_co_u32_e32 v5, vcc, v10, v5
	v_subb_co_u32_e64 v10, s[4:5], v12, v13, vcc
	v_subrev_co_u32_e64 v12, s[4:5], s40, v5
	v_subbrev_co_u32_e64 v10, s[4:5], 0, v10, s[4:5]
	v_cmp_le_u32_e64 s[4:5], s41, v10
	v_cndmask_b32_e64 v13, 0, -1, s[4:5]
	v_cmp_le_u32_e64 s[4:5], s40, v12
	v_cndmask_b32_e64 v12, 0, -1, s[4:5]
	v_cmp_eq_u32_e64 s[4:5], s41, v10
	v_cndmask_b32_e64 v10, v13, v12, s[4:5]
	v_add_co_u32_e64 v12, s[4:5], 2, v7
	v_subb_co_u32_e32 v6, vcc, v11, v6, vcc
	v_addc_co_u32_e64 v13, s[4:5], 0, v8, s[4:5]
	v_cmp_le_u32_e32 vcc, s41, v6
	v_add_co_u32_e64 v14, s[4:5], 1, v7
	v_cndmask_b32_e64 v11, 0, -1, vcc
	v_cmp_le_u32_e32 vcc, s40, v5
	v_addc_co_u32_e64 v15, s[4:5], 0, v8, s[4:5]
	v_cndmask_b32_e64 v5, 0, -1, vcc
	v_cmp_eq_u32_e32 vcc, s41, v6
	v_cmp_ne_u32_e64 s[4:5], 0, v10
	v_cndmask_b32_e32 v5, v11, v5, vcc
	v_cndmask_b32_e64 v10, v15, v13, s[4:5]
	v_cmp_ne_u32_e32 vcc, 0, v5
	v_cndmask_b32_e64 v6, v14, v12, s[4:5]
	v_cndmask_b32_e32 v5, v8, v10, vcc
	v_cndmask_b32_e32 v6, v7, v6, vcc
	v_xor_b32_e32 v7, v5, v3
	v_xor_b32_e32 v5, v6, v3
	v_sub_co_u32_e32 v5, vcc, v5, v3
	v_subb_co_u32_e32 v6, vcc, v7, v3, vcc
.LBB5_5:                                ;   in Loop: Header=BB5_3 Depth=1
	s_andn2_saveexec_b64 s[4:5], s[38:39]
	s_cbranch_execz .LBB5_7
; %bb.6:                                ;   in Loop: Header=BB5_3 Depth=1
	v_cvt_f32_u32_e32 v3, s26
	s_sub_i32 s21, 0, s26
	v_rcp_iflag_f32_e32 v3, v3
	v_mul_f32_e32 v3, 0x4f7ffffe, v3
	v_cvt_u32_f32_e32 v3, v3
	v_mul_lo_u32 v5, s21, v3
	v_mul_hi_u32 v5, v3, v5
	v_add_u32_e32 v3, v3, v5
	v_mul_hi_u32 v3, v4, v3
	v_mul_lo_u32 v5, v3, s26
	v_add_u32_e32 v6, 1, v3
	v_sub_u32_e32 v5, v4, v5
	v_subrev_u32_e32 v7, s26, v5
	v_cmp_le_u32_e32 vcc, s26, v5
	v_cndmask_b32_e32 v5, v5, v7, vcc
	v_cndmask_b32_e32 v3, v3, v6, vcc
	v_add_u32_e32 v6, 1, v3
	v_cmp_le_u32_e32 vcc, s26, v5
	v_cndmask_b32_e32 v5, v3, v6, vcc
	v_mov_b32_e32 v6, v2
.LBB5_7:                                ;   in Loop: Header=BB5_3 Depth=1
	s_or_b64 exec, exec, s[4:5]
	v_mul_lo_u32 v3, v4, s8
	v_mul_lo_u32 v7, v5, s26
	v_sub_u32_e32 v3, v0, v3
	v_sub_u32_e32 v4, v4, v7
	v_mul_lo_u32 v4, s11, v4
	v_mul_lo_u32 v3, v3, s12
	v_subrev_u32_e32 v10, s13, v4
	v_subrev_u32_e32 v11, s14, v3
	v_add_u32_e32 v3, s9, v10
	v_add_u32_e32 v4, s10, v11
	v_min_i32_e32 v12, s33, v3
	v_min_i32_e32 v13, s42, v4
	v_max_i32_e32 v14, 0, v10
	v_max_i32_e32 v15, 0, v11
	v_min_i32_e32 v16, s20, v12
	v_min_i32_e32 v17, s22, v13
	v_cmp_le_i32_e32 vcc, v16, v14
	v_cmp_le_i32_e64 s[4:5], v17, v15
	v_lshlrev_b64 v[3:4], 1, v[0:1]
	s_or_b64 s[4:5], s[4:5], vcc
	s_and_saveexec_b64 s[38:39], s[4:5]
	s_xor_b64 s[4:5], exec, s[38:39]
	s_cbranch_execz .LBB5_9
; %bb.8:                                ;   in Loop: Header=BB5_3 Depth=1
	v_mov_b32_e32 v5, s17
	v_add_co_u32_e32 v3, vcc, s16, v3
	v_addc_co_u32_e32 v4, vcc, v5, v4, vcc
	global_store_short v[3:4], v2, off
                                        ; implicit-def: $vgpr5_vgpr6
                                        ; implicit-def: $vgpr10
                                        ; implicit-def: $vgpr11
                                        ; implicit-def: $vgpr12
                                        ; implicit-def: $vgpr13
                                        ; implicit-def: $vgpr14
                                        ; implicit-def: $vgpr15
                                        ; implicit-def: $vgpr16
                                        ; implicit-def: $vgpr17
                                        ; implicit-def: $vgpr3_vgpr4
.LBB5_9:                                ;   in Loop: Header=BB5_3 Depth=1
	s_andn2_saveexec_b64 s[4:5], s[4:5]
	s_cbranch_execz .LBB5_2
; %bb.10:                               ;   in Loop: Header=BB5_3 Depth=1
	v_lshlrev_b32_e32 v7, 1, v14
	v_mov_b32_e32 v8, v2
	v_mul_lo_u32 v18, s30, v6
	v_mul_lo_u32 v19, s31, v5
	v_mad_u64_u32 v[5:6], s[38:39], s30, v5, v[7:8]
	v_mov_b32_e32 v7, v2
	v_add3_u32 v8, v19, v6, v18
	v_lshlrev_b32_e32 v6, 1, v15
	v_mul_lo_u32 v8, s22, v8
	v_mad_u64_u32 v[6:7], s[38:39], s22, v5, v[6:7]
	v_mul_lo_u32 v5, s23, v5
	v_mov_b32_e32 v18, 0
	s_mov_b64 s[38:39], 0
	v_mov_b32_e32 v19, v14
	v_add3_u32 v7, v5, v7, v8
	v_mov_b32_e32 v8, s7
	v_add_co_u32_e32 v5, vcc, s6, v6
	v_addc_co_u32_e32 v6, vcc, v8, v7, vcc
.LBB5_11:                               ;   Parent Loop BB5_3 Depth=1
                                        ; =>  This Loop Header: Depth=2
                                        ;       Child Loop BB5_12 Depth 3
	v_mov_b32_e32 v8, v6
	s_mov_b64 s[40:41], 0
	v_mov_b32_e32 v7, v5
	v_mov_b32_e32 v20, v15
.LBB5_12:                               ;   Parent Loop BB5_3 Depth=1
                                        ;     Parent Loop BB5_11 Depth=2
                                        ; =>    This Inner Loop Header: Depth=3
	global_load_ushort v21, v[7:8], off
	v_add_co_u32_e32 v7, vcc, 2, v7
	v_add_u32_e32 v20, 1, v20
	v_addc_co_u32_e32 v8, vcc, 0, v8, vcc
	v_cmp_ge_i32_e32 vcc, v20, v17
	s_or_b64 s[40:41], vcc, s[40:41]
	s_waitcnt vmcnt(0)
	v_cvt_f32_f16_e32 v21, v21
	v_add_f32_e32 v18, v18, v21
	s_andn2_b64 exec, exec, s[40:41]
	s_cbranch_execnz .LBB5_12
; %bb.13:                               ;   in Loop: Header=BB5_11 Depth=2
	s_or_b64 exec, exec, s[40:41]
	v_add_u32_e32 v19, 1, v19
	v_cmp_ge_i32_e32 vcc, v19, v16
	v_mov_b32_e32 v7, s35
	s_or_b64 s[38:39], vcc, s[38:39]
	v_add_co_u32_e32 v5, vcc, s34, v5
	v_addc_co_u32_e32 v6, vcc, v6, v7, vcc
	s_andn2_b64 exec, exec, s[38:39]
	s_cbranch_execnz .LBB5_11
; %bb.14:                               ;   in Loop: Header=BB5_3 Depth=1
	s_or_b64 exec, exec, s[38:39]
	v_sub_u32_e32 v5, v12, v10
	v_sub_u32_e32 v6, v13, v11
	v_mul_lo_u32 v5, v5, v6
	v_sub_u32_e32 v6, v16, v14
	v_sub_u32_e32 v7, v17, v15
	v_mul_lo_u32 v6, v6, v7
	v_cndmask_b32_e64 v5, v6, v5, s[0:1]
	v_mov_b32_e32 v6, s18
	v_cndmask_b32_e64 v5, v5, v6, s[2:3]
	v_cvt_f32_i32_e32 v5, v5
	v_div_scale_f32 v6, s[38:39], v5, v5, v18
	v_div_scale_f32 v7, vcc, v18, v5, v18
	v_rcp_f32_e32 v8, v6
	v_fma_f32 v10, -v6, v8, 1.0
	v_fmac_f32_e32 v8, v10, v8
	v_mul_f32_e32 v10, v7, v8
	v_fma_f32 v11, -v6, v10, v7
	v_fmac_f32_e32 v10, v11, v8
	v_fma_f32 v6, -v6, v10, v7
	v_div_fmas_f32 v6, v6, v8, v10
	v_mov_b32_e32 v7, s17
	v_add_co_u32_e32 v3, vcc, s16, v3
	v_addc_co_u32_e32 v4, vcc, v7, v4, vcc
	v_div_fixup_f32 v5, v6, v5, v18
	v_cvt_f16_f32_e32 v5, v5
	global_store_short v[3:4], v5, off
	s_branch .LBB5_2
.LBB5_15:
	s_endpgm
	.section	.rodata,"a",@progbits
	.p2align	6, 0x0
	.amdhsa_kernel _ZN2at6native12_GLOBAL__N_125avg_pool2d_out_cuda_frameIN3c104HalfEfEEviPKT_lllliiiiiiiPS5_ibb
		.amdhsa_group_segment_fixed_size 0
		.amdhsa_private_segment_fixed_size 0
		.amdhsa_kernarg_size 352
		.amdhsa_user_sgpr_count 6
		.amdhsa_user_sgpr_private_segment_buffer 1
		.amdhsa_user_sgpr_dispatch_ptr 0
		.amdhsa_user_sgpr_queue_ptr 0
		.amdhsa_user_sgpr_kernarg_segment_ptr 1
		.amdhsa_user_sgpr_dispatch_id 0
		.amdhsa_user_sgpr_flat_scratch_init 0
		.amdhsa_user_sgpr_private_segment_size 0
		.amdhsa_uses_dynamic_stack 0
		.amdhsa_system_sgpr_private_segment_wavefront_offset 0
		.amdhsa_system_sgpr_workgroup_id_x 1
		.amdhsa_system_sgpr_workgroup_id_y 0
		.amdhsa_system_sgpr_workgroup_id_z 0
		.amdhsa_system_sgpr_workgroup_info 0
		.amdhsa_system_vgpr_workitem_id 0
		.amdhsa_next_free_vgpr 22
		.amdhsa_next_free_sgpr 50
		.amdhsa_reserve_vcc 1
		.amdhsa_reserve_flat_scratch 0
		.amdhsa_float_round_mode_32 0
		.amdhsa_float_round_mode_16_64 0
		.amdhsa_float_denorm_mode_32 3
		.amdhsa_float_denorm_mode_16_64 3
		.amdhsa_dx10_clamp 1
		.amdhsa_ieee_mode 1
		.amdhsa_fp16_overflow 0
		.amdhsa_exception_fp_ieee_invalid_op 0
		.amdhsa_exception_fp_denorm_src 0
		.amdhsa_exception_fp_ieee_div_zero 0
		.amdhsa_exception_fp_ieee_overflow 0
		.amdhsa_exception_fp_ieee_underflow 0
		.amdhsa_exception_fp_ieee_inexact 0
		.amdhsa_exception_int_div_zero 0
	.end_amdhsa_kernel
	.section	.text._ZN2at6native12_GLOBAL__N_125avg_pool2d_out_cuda_frameIN3c104HalfEfEEviPKT_lllliiiiiiiPS5_ibb,"axG",@progbits,_ZN2at6native12_GLOBAL__N_125avg_pool2d_out_cuda_frameIN3c104HalfEfEEviPKT_lllliiiiiiiPS5_ibb,comdat
.Lfunc_end5:
	.size	_ZN2at6native12_GLOBAL__N_125avg_pool2d_out_cuda_frameIN3c104HalfEfEEviPKT_lllliiiiiiiPS5_ibb, .Lfunc_end5-_ZN2at6native12_GLOBAL__N_125avg_pool2d_out_cuda_frameIN3c104HalfEfEEviPKT_lllliiiiiiiPS5_ibb
                                        ; -- End function
	.set _ZN2at6native12_GLOBAL__N_125avg_pool2d_out_cuda_frameIN3c104HalfEfEEviPKT_lllliiiiiiiPS5_ibb.num_vgpr, 22
	.set _ZN2at6native12_GLOBAL__N_125avg_pool2d_out_cuda_frameIN3c104HalfEfEEviPKT_lllliiiiiiiPS5_ibb.num_agpr, 0
	.set _ZN2at6native12_GLOBAL__N_125avg_pool2d_out_cuda_frameIN3c104HalfEfEEviPKT_lllliiiiiiiPS5_ibb.numbered_sgpr, 50
	.set _ZN2at6native12_GLOBAL__N_125avg_pool2d_out_cuda_frameIN3c104HalfEfEEviPKT_lllliiiiiiiPS5_ibb.num_named_barrier, 0
	.set _ZN2at6native12_GLOBAL__N_125avg_pool2d_out_cuda_frameIN3c104HalfEfEEviPKT_lllliiiiiiiPS5_ibb.private_seg_size, 0
	.set _ZN2at6native12_GLOBAL__N_125avg_pool2d_out_cuda_frameIN3c104HalfEfEEviPKT_lllliiiiiiiPS5_ibb.uses_vcc, 1
	.set _ZN2at6native12_GLOBAL__N_125avg_pool2d_out_cuda_frameIN3c104HalfEfEEviPKT_lllliiiiiiiPS5_ibb.uses_flat_scratch, 0
	.set _ZN2at6native12_GLOBAL__N_125avg_pool2d_out_cuda_frameIN3c104HalfEfEEviPKT_lllliiiiiiiPS5_ibb.has_dyn_sized_stack, 0
	.set _ZN2at6native12_GLOBAL__N_125avg_pool2d_out_cuda_frameIN3c104HalfEfEEviPKT_lllliiiiiiiPS5_ibb.has_recursion, 0
	.set _ZN2at6native12_GLOBAL__N_125avg_pool2d_out_cuda_frameIN3c104HalfEfEEviPKT_lllliiiiiiiPS5_ibb.has_indirect_call, 0
	.section	.AMDGPU.csdata,"",@progbits
; Kernel info:
; codeLenInByte = 1592
; TotalNumSgprs: 54
; NumVgprs: 22
; ScratchSize: 0
; MemoryBound: 0
; FloatMode: 240
; IeeeMode: 1
; LDSByteSize: 0 bytes/workgroup (compile time only)
; SGPRBlocks: 6
; VGPRBlocks: 5
; NumSGPRsForWavesPerEU: 54
; NumVGPRsForWavesPerEU: 22
; Occupancy: 10
; WaveLimiterHint : 0
; COMPUTE_PGM_RSRC2:SCRATCH_EN: 0
; COMPUTE_PGM_RSRC2:USER_SGPR: 6
; COMPUTE_PGM_RSRC2:TRAP_HANDLER: 0
; COMPUTE_PGM_RSRC2:TGID_X_EN: 1
; COMPUTE_PGM_RSRC2:TGID_Y_EN: 0
; COMPUTE_PGM_RSRC2:TGID_Z_EN: 0
; COMPUTE_PGM_RSRC2:TIDIG_COMP_CNT: 0
	.section	.text._ZN2at6native12_GLOBAL__N_130avg_pool2d_out_cuda_frame_nhwcIN3c108BFloat16EfEEviPKT_llliiiiiiiiPS5_ibb,"axG",@progbits,_ZN2at6native12_GLOBAL__N_130avg_pool2d_out_cuda_frame_nhwcIN3c108BFloat16EfEEviPKT_llliiiiiiiiPS5_ibb,comdat
	.globl	_ZN2at6native12_GLOBAL__N_130avg_pool2d_out_cuda_frame_nhwcIN3c108BFloat16EfEEviPKT_llliiiiiiiiPS5_ibb ; -- Begin function _ZN2at6native12_GLOBAL__N_130avg_pool2d_out_cuda_frame_nhwcIN3c108BFloat16EfEEviPKT_llliiiiiiiiPS5_ibb
	.p2align	8
	.type	_ZN2at6native12_GLOBAL__N_130avg_pool2d_out_cuda_frame_nhwcIN3c108BFloat16EfEEviPKT_llliiiiiiiiPS5_ibb,@function
_ZN2at6native12_GLOBAL__N_130avg_pool2d_out_cuda_frame_nhwcIN3c108BFloat16EfEEviPKT_llliiiiiiiiPS5_ibb: ; @_ZN2at6native12_GLOBAL__N_130avg_pool2d_out_cuda_frame_nhwcIN3c108BFloat16EfEEviPKT_llliiiiiiiiPS5_ibb
; %bb.0:
	s_load_dword s28, s[4:5], 0x0
	s_load_dword s0, s[4:5], 0x64
	v_mov_b32_e32 v2, 0
	v_mov_b32_e32 v1, v2
	;; [unrolled: 1-line block ×3, first 2 shown]
	s_waitcnt lgkmcnt(0)
	s_ashr_i32 s29, s28, 31
	s_add_u32 s30, s4, 0x58
	s_addc_u32 s31, s5, 0
	s_and_b32 s7, s0, 0xffff
	v_mad_u64_u32 v[0:1], s[0:1], s7, v3, v[0:1]
	v_cmp_gt_i64_e32 vcc, s[28:29], v[0:1]
	s_and_saveexec_b64 s[0:1], vcc
	s_cbranch_execz .LBB6_21
; %bb.1:
	s_load_dwordx4 s[24:27], s[4:5], 0x48
	s_load_dword s2, s[4:5], 0x54
	s_load_dwordx8 s[8:15], s[4:5], 0x8
	s_load_dwordx8 s[16:23], s[4:5], 0x28
	s_mov_b64 s[36:37], 0
	s_load_dword s4, s[30:31], 0x0
	s_waitcnt lgkmcnt(0)
	s_bitcmp1_b32 s27, 0
	s_cselect_b64 s[0:1], -1, 0
	s_bitcmp1_b32 s2, 8
	s_mul_hi_u32 s5, s14, s12
	s_mul_i32 s48, s4, s7
	s_mul_i32 s4, s14, s13
	s_cselect_b64 s[2:3], -1, 0
	s_add_i32 s4, s5, s4
	s_mul_i32 s5, s15, s12
	s_add_i32 s5, s4, s5
	s_mul_i32 s4, s14, s12
	s_lshl_b64 s[6:7], s[4:5], 1
	s_mul_i32 s4, s14, s11
	s_mul_hi_u32 s5, s14, s10
	s_add_i32 s4, s5, s4
	s_mul_i32 s5, s15, s10
	s_add_i32 s5, s4, s5
	s_mul_i32 s4, s14, s10
	s_ashr_i32 s27, s17, 31
	s_ashr_i32 s33, s16, 31
	s_add_i32 s46, s22, s12
	s_add_i32 s47, s23, s14
	s_lshl_b64 s[30:31], s[4:5], 1
	s_lshl_b64 s[34:35], s[10:11], 1
	s_ashr_i32 s38, s11, 31
	s_movk_i32 s13, 0x7fff
	v_mov_b32_e32 v12, 0x7fc0
	s_branch .LBB6_3
.LBB6_2:                                ;   in Loop: Header=BB6_3 Depth=1
	s_or_b64 exec, exec, s[4:5]
	v_add_co_u32_e32 v0, vcc, s48, v0
	v_addc_co_u32_e32 v1, vcc, 0, v1, vcc
	v_cmp_le_i64_e32 vcc, s[28:29], v[0:1]
	v_mov_b32_e32 v5, s25
	v_add_co_u32_e64 v4, s[4:5], s24, v6
	v_addc_co_u32_e64 v5, s[4:5], v5, v7, s[4:5]
	s_or_b64 s[36:37], vcc, s[36:37]
	global_store_short v[4:5], v3, off
	s_andn2_b64 exec, exec, s[36:37]
	s_cbranch_execz .LBB6_21
.LBB6_3:                                ; =>This Loop Header: Depth=1
                                        ;     Child Loop BB6_17 Depth 2
                                        ;       Child Loop BB6_18 Depth 3
	v_or_b32_e32 v3, s11, v1
	v_cmp_ne_u64_e32 vcc, 0, v[2:3]
                                        ; implicit-def: $vgpr4_vgpr5
	s_and_saveexec_b64 s[4:5], vcc
	s_xor_b64 s[40:41], exec, s[4:5]
	s_cbranch_execz .LBB6_5
; %bb.4:                                ;   in Loop: Header=BB6_3 Depth=1
	s_add_u32 s4, s10, s38
	s_mov_b32 s39, s38
	s_addc_u32 s5, s11, s38
	s_xor_b64 s[42:43], s[4:5], s[38:39]
	v_cvt_f32_u32_e32 v3, s42
	v_cvt_f32_u32_e32 v4, s43
	s_sub_u32 s39, 0, s42
	s_subb_u32 s44, 0, s43
	v_ashrrev_i32_e32 v7, 31, v1
	v_mac_f32_e32 v3, 0x4f800000, v4
	v_rcp_f32_e32 v3, v3
	v_mul_f32_e32 v3, 0x5f7ffffc, v3
	v_mul_f32_e32 v4, 0x2f800000, v3
	v_trunc_f32_e32 v4, v4
	v_mac_f32_e32 v3, 0xcf800000, v4
	v_cvt_u32_f32_e32 v4, v4
	v_cvt_u32_f32_e32 v3, v3
	v_readfirstlane_b32 s45, v4
	v_readfirstlane_b32 s4, v3
	s_mul_i32 s5, s39, s45
	s_mul_hi_u32 s50, s39, s4
	s_mul_i32 s49, s44, s4
	s_add_i32 s5, s50, s5
	s_add_i32 s5, s5, s49
	s_mul_i32 s51, s39, s4
	s_mul_i32 s50, s4, s5
	s_mul_hi_u32 s52, s4, s51
	s_mul_hi_u32 s49, s4, s5
	s_add_u32 s50, s52, s50
	s_addc_u32 s49, 0, s49
	s_mul_hi_u32 s53, s45, s51
	s_mul_i32 s51, s45, s51
	s_add_u32 s50, s50, s51
	s_mul_hi_u32 s52, s45, s5
	s_addc_u32 s49, s49, s53
	s_addc_u32 s50, s52, 0
	s_mul_i32 s5, s45, s5
	s_add_u32 s5, s49, s5
	s_addc_u32 s49, 0, s50
	s_add_u32 s50, s4, s5
	s_cselect_b64 s[4:5], -1, 0
	s_cmp_lg_u64 s[4:5], 0
	s_addc_u32 s45, s45, s49
	s_mul_i32 s4, s39, s45
	s_mul_hi_u32 s5, s39, s50
	s_add_i32 s4, s5, s4
	s_mul_i32 s44, s44, s50
	s_add_i32 s4, s4, s44
	s_mul_i32 s39, s39, s50
	s_mul_hi_u32 s44, s45, s39
	s_mul_i32 s49, s45, s39
	s_mul_i32 s52, s50, s4
	s_mul_hi_u32 s39, s50, s39
	s_mul_hi_u32 s51, s50, s4
	s_add_u32 s39, s39, s52
	s_addc_u32 s51, 0, s51
	s_add_u32 s39, s39, s49
	s_mul_hi_u32 s5, s45, s4
	s_addc_u32 s39, s51, s44
	s_addc_u32 s5, s5, 0
	s_mul_i32 s4, s45, s4
	s_add_u32 s4, s39, s4
	s_addc_u32 s39, 0, s5
	s_add_u32 s44, s50, s4
	s_cselect_b64 s[4:5], -1, 0
	s_cmp_lg_u64 s[4:5], 0
	v_add_co_u32_e32 v3, vcc, v0, v7
	s_addc_u32 s39, s45, s39
	v_xor_b32_e32 v8, v3, v7
	v_mad_u64_u32 v[3:4], s[4:5], v8, s39, 0
	v_mul_hi_u32 v6, v8, s44
	v_addc_co_u32_e32 v5, vcc, v1, v7, vcc
	v_xor_b32_e32 v9, v5, v7
	v_add_co_u32_e32 v10, vcc, v6, v3
	v_addc_co_u32_e32 v11, vcc, 0, v4, vcc
	v_mad_u64_u32 v[3:4], s[4:5], v9, s44, 0
	v_mad_u64_u32 v[5:6], s[4:5], v9, s39, 0
	v_add_co_u32_e32 v3, vcc, v10, v3
	v_addc_co_u32_e32 v3, vcc, v11, v4, vcc
	v_addc_co_u32_e32 v4, vcc, 0, v6, vcc
	v_add_co_u32_e32 v5, vcc, v3, v5
	v_addc_co_u32_e32 v6, vcc, 0, v4, vcc
	v_mul_lo_u32 v10, s43, v5
	v_mul_lo_u32 v11, s42, v6
	v_mad_u64_u32 v[3:4], s[4:5], s42, v5, 0
	v_add3_u32 v4, v4, v11, v10
	v_sub_u32_e32 v10, v9, v4
	v_mov_b32_e32 v11, s43
	v_sub_co_u32_e32 v3, vcc, v8, v3
	v_subb_co_u32_e64 v8, s[4:5], v10, v11, vcc
	v_subrev_co_u32_e64 v10, s[4:5], s42, v3
	v_subbrev_co_u32_e64 v8, s[4:5], 0, v8, s[4:5]
	v_cmp_le_u32_e64 s[4:5], s43, v8
	v_cndmask_b32_e64 v11, 0, -1, s[4:5]
	v_cmp_le_u32_e64 s[4:5], s42, v10
	v_cndmask_b32_e64 v10, 0, -1, s[4:5]
	v_cmp_eq_u32_e64 s[4:5], s43, v8
	v_cndmask_b32_e64 v8, v11, v10, s[4:5]
	v_add_co_u32_e64 v10, s[4:5], 2, v5
	v_subb_co_u32_e32 v4, vcc, v9, v4, vcc
	v_addc_co_u32_e64 v11, s[4:5], 0, v6, s[4:5]
	v_cmp_le_u32_e32 vcc, s43, v4
	v_add_co_u32_e64 v13, s[4:5], 1, v5
	v_cndmask_b32_e64 v9, 0, -1, vcc
	v_cmp_le_u32_e32 vcc, s42, v3
	v_addc_co_u32_e64 v14, s[4:5], 0, v6, s[4:5]
	v_cndmask_b32_e64 v3, 0, -1, vcc
	v_cmp_eq_u32_e32 vcc, s43, v4
	v_cmp_ne_u32_e64 s[4:5], 0, v8
	v_cndmask_b32_e32 v3, v9, v3, vcc
	v_cmp_ne_u32_e32 vcc, 0, v3
	v_cndmask_b32_e64 v4, v13, v10, s[4:5]
	v_cndmask_b32_e64 v8, v14, v11, s[4:5]
	v_cndmask_b32_e32 v4, v5, v4, vcc
	v_xor_b32_e32 v5, s38, v7
	v_cndmask_b32_e32 v3, v6, v8, vcc
	v_xor_b32_e32 v4, v4, v5
	v_xor_b32_e32 v3, v3, v5
	v_sub_co_u32_e32 v4, vcc, v4, v5
	v_subb_co_u32_e32 v5, vcc, v3, v5, vcc
.LBB6_5:                                ;   in Loop: Header=BB6_3 Depth=1
	s_andn2_saveexec_b64 s[4:5], s[40:41]
	s_cbranch_execz .LBB6_7
; %bb.6:                                ;   in Loop: Header=BB6_3 Depth=1
	v_cvt_f32_u32_e32 v3, s10
	s_sub_i32 s39, 0, s10
	v_rcp_iflag_f32_e32 v3, v3
	v_mul_f32_e32 v3, 0x4f7ffffe, v3
	v_cvt_u32_f32_e32 v3, v3
	v_mul_lo_u32 v4, s39, v3
	v_mul_hi_u32 v4, v3, v4
	v_add_u32_e32 v3, v3, v4
	v_mul_hi_u32 v3, v0, v3
	v_mul_lo_u32 v4, v3, s10
	v_add_u32_e32 v5, 1, v3
	v_sub_u32_e32 v4, v0, v4
	v_subrev_u32_e32 v6, s10, v4
	v_cmp_le_u32_e32 vcc, s10, v4
	v_cndmask_b32_e32 v4, v4, v6, vcc
	v_cndmask_b32_e32 v3, v3, v5, vcc
	v_add_u32_e32 v5, 1, v3
	v_cmp_le_u32_e32 vcc, s10, v4
	v_cndmask_b32_e32 v4, v3, v5, vcc
	v_mov_b32_e32 v5, v2
.LBB6_7:                                ;   in Loop: Header=BB6_3 Depth=1
	s_or_b64 exec, exec, s[4:5]
	v_or_b32_e32 v3, s27, v5
	v_cmp_ne_u64_e32 vcc, 0, v[2:3]
                                        ; implicit-def: $vgpr6_vgpr7
	s_and_saveexec_b64 s[4:5], vcc
	s_xor_b64 s[40:41], exec, s[4:5]
	s_cbranch_execz .LBB6_9
; %bb.8:                                ;   in Loop: Header=BB6_3 Depth=1
	s_ashr_i32 s42, s27, 31
	s_add_u32 s4, s17, s42
	s_mov_b32 s43, s42
	s_addc_u32 s5, s27, s42
	s_xor_b64 s[44:45], s[4:5], s[42:43]
	v_cvt_f32_u32_e32 v3, s44
	v_cvt_f32_u32_e32 v6, s45
	s_sub_u32 s39, 0, s44
	s_subb_u32 s43, 0, s45
	v_mac_f32_e32 v3, 0x4f800000, v6
	v_rcp_f32_e32 v3, v3
	v_mul_f32_e32 v3, 0x5f7ffffc, v3
	v_mul_f32_e32 v6, 0x2f800000, v3
	v_trunc_f32_e32 v6, v6
	v_mac_f32_e32 v3, 0xcf800000, v6
	v_cvt_u32_f32_e32 v6, v6
	v_cvt_u32_f32_e32 v3, v3
	v_readfirstlane_b32 s49, v6
	v_readfirstlane_b32 s4, v3
	s_mul_i32 s5, s39, s49
	s_mul_hi_u32 s51, s39, s4
	s_mul_i32 s50, s43, s4
	s_add_i32 s5, s51, s5
	s_add_i32 s5, s5, s50
	s_mul_i32 s52, s39, s4
	s_mul_i32 s51, s4, s5
	s_mul_hi_u32 s53, s4, s52
	s_mul_hi_u32 s50, s4, s5
	s_add_u32 s51, s53, s51
	s_addc_u32 s50, 0, s50
	s_mul_hi_u32 s54, s49, s52
	s_mul_i32 s52, s49, s52
	s_add_u32 s51, s51, s52
	s_mul_hi_u32 s53, s49, s5
	s_addc_u32 s50, s50, s54
	s_addc_u32 s51, s53, 0
	s_mul_i32 s5, s49, s5
	s_add_u32 s5, s50, s5
	s_addc_u32 s50, 0, s51
	s_add_u32 s51, s4, s5
	s_cselect_b64 s[4:5], -1, 0
	s_cmp_lg_u64 s[4:5], 0
	s_addc_u32 s49, s49, s50
	s_mul_i32 s4, s39, s49
	s_mul_hi_u32 s5, s39, s51
	s_add_i32 s4, s5, s4
	s_mul_i32 s43, s43, s51
	s_add_i32 s4, s4, s43
	s_mul_i32 s39, s39, s51
	s_mul_hi_u32 s43, s49, s39
	s_mul_i32 s50, s49, s39
	s_mul_i32 s53, s51, s4
	s_mul_hi_u32 s39, s51, s39
	s_mul_hi_u32 s52, s51, s4
	s_add_u32 s39, s39, s53
	s_addc_u32 s52, 0, s52
	s_add_u32 s39, s39, s50
	s_mul_hi_u32 s5, s49, s4
	s_addc_u32 s39, s52, s43
	s_addc_u32 s5, s5, 0
	s_mul_i32 s4, s49, s4
	s_add_u32 s4, s39, s4
	s_addc_u32 s39, 0, s5
	s_add_u32 s43, s51, s4
	s_cselect_b64 s[4:5], -1, 0
	v_ashrrev_i32_e32 v3, 31, v5
	s_cmp_lg_u64 s[4:5], 0
	v_add_co_u32_e32 v6, vcc, v4, v3
	s_addc_u32 s39, s49, s39
	v_xor_b32_e32 v10, v6, v3
	v_mad_u64_u32 v[6:7], s[4:5], v10, s39, 0
	v_mul_hi_u32 v9, v10, s43
	v_addc_co_u32_e32 v8, vcc, v5, v3, vcc
	v_xor_b32_e32 v11, v8, v3
	v_add_co_u32_e32 v13, vcc, v9, v6
	v_addc_co_u32_e32 v14, vcc, 0, v7, vcc
	v_mad_u64_u32 v[6:7], s[4:5], v11, s43, 0
	v_mad_u64_u32 v[8:9], s[4:5], v11, s39, 0
	v_add_co_u32_e32 v6, vcc, v13, v6
	v_addc_co_u32_e32 v6, vcc, v14, v7, vcc
	v_addc_co_u32_e32 v7, vcc, 0, v9, vcc
	v_add_co_u32_e32 v8, vcc, v6, v8
	v_addc_co_u32_e32 v9, vcc, 0, v7, vcc
	v_mul_lo_u32 v13, s45, v8
	v_mul_lo_u32 v14, s44, v9
	v_mad_u64_u32 v[6:7], s[4:5], s44, v8, 0
	v_xor_b32_e32 v3, s42, v3
	v_add3_u32 v7, v7, v14, v13
	v_sub_u32_e32 v13, v11, v7
	v_mov_b32_e32 v14, s45
	v_sub_co_u32_e32 v6, vcc, v10, v6
	v_subb_co_u32_e64 v10, s[4:5], v13, v14, vcc
	v_subrev_co_u32_e64 v13, s[4:5], s44, v6
	v_subbrev_co_u32_e64 v10, s[4:5], 0, v10, s[4:5]
	v_cmp_le_u32_e64 s[4:5], s45, v10
	v_cndmask_b32_e64 v14, 0, -1, s[4:5]
	v_cmp_le_u32_e64 s[4:5], s44, v13
	v_cndmask_b32_e64 v13, 0, -1, s[4:5]
	v_cmp_eq_u32_e64 s[4:5], s45, v10
	v_cndmask_b32_e64 v10, v14, v13, s[4:5]
	v_add_co_u32_e64 v13, s[4:5], 2, v8
	v_subb_co_u32_e32 v7, vcc, v11, v7, vcc
	v_addc_co_u32_e64 v14, s[4:5], 0, v9, s[4:5]
	v_cmp_le_u32_e32 vcc, s45, v7
	v_add_co_u32_e64 v15, s[4:5], 1, v8
	v_cndmask_b32_e64 v11, 0, -1, vcc
	v_cmp_le_u32_e32 vcc, s44, v6
	v_addc_co_u32_e64 v16, s[4:5], 0, v9, s[4:5]
	v_cndmask_b32_e64 v6, 0, -1, vcc
	v_cmp_eq_u32_e32 vcc, s45, v7
	v_cmp_ne_u32_e64 s[4:5], 0, v10
	v_cndmask_b32_e32 v6, v11, v6, vcc
	v_cndmask_b32_e64 v10, v16, v14, s[4:5]
	v_cmp_ne_u32_e32 vcc, 0, v6
	v_cndmask_b32_e64 v7, v15, v13, s[4:5]
	v_cndmask_b32_e32 v6, v9, v10, vcc
	v_cndmask_b32_e32 v7, v8, v7, vcc
	v_xor_b32_e32 v8, v6, v3
	v_xor_b32_e32 v6, v7, v3
	v_sub_co_u32_e32 v6, vcc, v6, v3
	v_subb_co_u32_e32 v7, vcc, v8, v3, vcc
.LBB6_9:                                ;   in Loop: Header=BB6_3 Depth=1
	s_andn2_saveexec_b64 s[4:5], s[40:41]
	s_cbranch_execz .LBB6_11
; %bb.10:                               ;   in Loop: Header=BB6_3 Depth=1
	v_cvt_f32_u32_e32 v3, s17
	s_sub_i32 s39, 0, s17
	v_rcp_iflag_f32_e32 v3, v3
	v_mul_f32_e32 v3, 0x4f7ffffe, v3
	v_cvt_u32_f32_e32 v3, v3
	v_mul_lo_u32 v6, s39, v3
	v_mul_hi_u32 v6, v3, v6
	v_add_u32_e32 v3, v3, v6
	v_mul_hi_u32 v3, v4, v3
	v_mul_lo_u32 v6, v3, s17
	v_add_u32_e32 v7, 1, v3
	v_sub_u32_e32 v6, v4, v6
	v_subrev_u32_e32 v8, s17, v6
	v_cmp_le_u32_e32 vcc, s17, v6
	v_cndmask_b32_e32 v6, v6, v8, vcc
	v_cndmask_b32_e32 v3, v3, v7, vcc
	v_add_u32_e32 v7, 1, v3
	v_cmp_le_u32_e32 vcc, s17, v6
	v_cndmask_b32_e32 v6, v3, v7, vcc
	v_mov_b32_e32 v7, v2
.LBB6_11:                               ;   in Loop: Header=BB6_3 Depth=1
	s_or_b64 exec, exec, s[4:5]
	v_or_b32_e32 v3, s33, v7
	v_cmp_ne_u64_e32 vcc, 0, v[2:3]
                                        ; implicit-def: $vgpr10_vgpr11
	s_and_saveexec_b64 s[4:5], vcc
	s_xor_b64 s[40:41], exec, s[4:5]
	s_cbranch_execz .LBB6_13
; %bb.12:                               ;   in Loop: Header=BB6_3 Depth=1
	s_ashr_i32 s42, s33, 31
	s_add_u32 s4, s16, s42
	s_mov_b32 s43, s42
	s_addc_u32 s5, s33, s42
	s_xor_b64 s[44:45], s[4:5], s[42:43]
	v_cvt_f32_u32_e32 v3, s44
	v_cvt_f32_u32_e32 v8, s45
	s_sub_u32 s39, 0, s44
	s_subb_u32 s43, 0, s45
	v_mac_f32_e32 v3, 0x4f800000, v8
	v_rcp_f32_e32 v3, v3
	v_mul_f32_e32 v3, 0x5f7ffffc, v3
	v_mul_f32_e32 v8, 0x2f800000, v3
	v_trunc_f32_e32 v8, v8
	v_mac_f32_e32 v3, 0xcf800000, v8
	v_cvt_u32_f32_e32 v8, v8
	v_cvt_u32_f32_e32 v3, v3
	v_readfirstlane_b32 s49, v8
	v_readfirstlane_b32 s4, v3
	s_mul_i32 s5, s39, s49
	s_mul_hi_u32 s51, s39, s4
	s_mul_i32 s50, s43, s4
	s_add_i32 s5, s51, s5
	s_add_i32 s5, s5, s50
	s_mul_i32 s52, s39, s4
	s_mul_i32 s51, s4, s5
	s_mul_hi_u32 s53, s4, s52
	s_mul_hi_u32 s50, s4, s5
	s_add_u32 s51, s53, s51
	s_addc_u32 s50, 0, s50
	s_mul_hi_u32 s54, s49, s52
	s_mul_i32 s52, s49, s52
	s_add_u32 s51, s51, s52
	s_mul_hi_u32 s53, s49, s5
	s_addc_u32 s50, s50, s54
	s_addc_u32 s51, s53, 0
	s_mul_i32 s5, s49, s5
	s_add_u32 s5, s50, s5
	s_addc_u32 s50, 0, s51
	s_add_u32 s51, s4, s5
	s_cselect_b64 s[4:5], -1, 0
	s_cmp_lg_u64 s[4:5], 0
	s_addc_u32 s49, s49, s50
	s_mul_i32 s4, s39, s49
	s_mul_hi_u32 s5, s39, s51
	s_add_i32 s4, s5, s4
	s_mul_i32 s43, s43, s51
	s_add_i32 s4, s4, s43
	s_mul_i32 s39, s39, s51
	s_mul_hi_u32 s43, s49, s39
	s_mul_i32 s50, s49, s39
	s_mul_i32 s53, s51, s4
	s_mul_hi_u32 s39, s51, s39
	s_mul_hi_u32 s52, s51, s4
	s_add_u32 s39, s39, s53
	s_addc_u32 s52, 0, s52
	s_add_u32 s39, s39, s50
	s_mul_hi_u32 s5, s49, s4
	s_addc_u32 s39, s52, s43
	s_addc_u32 s5, s5, 0
	s_mul_i32 s4, s49, s4
	s_add_u32 s4, s39, s4
	s_addc_u32 s39, 0, s5
	s_add_u32 s43, s51, s4
	s_cselect_b64 s[4:5], -1, 0
	v_ashrrev_i32_e32 v3, 31, v7
	s_cmp_lg_u64 s[4:5], 0
	v_add_co_u32_e32 v8, vcc, v6, v3
	s_addc_u32 s39, s49, s39
	v_xor_b32_e32 v11, v8, v3
	v_addc_co_u32_e32 v9, vcc, v7, v3, vcc
	v_mad_u64_u32 v[7:8], s[4:5], v11, s39, 0
	v_mul_hi_u32 v10, v11, s43
	v_xor_b32_e32 v13, v9, v3
	v_xor_b32_e32 v3, s42, v3
	v_add_co_u32_e32 v14, vcc, v10, v7
	v_addc_co_u32_e32 v15, vcc, 0, v8, vcc
	v_mad_u64_u32 v[7:8], s[4:5], v13, s43, 0
	v_mad_u64_u32 v[9:10], s[4:5], v13, s39, 0
	v_add_co_u32_e32 v7, vcc, v14, v7
	v_addc_co_u32_e32 v7, vcc, v15, v8, vcc
	v_addc_co_u32_e32 v8, vcc, 0, v10, vcc
	v_add_co_u32_e32 v9, vcc, v7, v9
	v_addc_co_u32_e32 v10, vcc, 0, v8, vcc
	v_mul_lo_u32 v14, s45, v9
	v_mul_lo_u32 v15, s44, v10
	v_mad_u64_u32 v[7:8], s[4:5], s44, v9, 0
	v_add3_u32 v8, v8, v15, v14
	v_sub_u32_e32 v14, v13, v8
	v_mov_b32_e32 v15, s45
	v_sub_co_u32_e32 v7, vcc, v11, v7
	v_subb_co_u32_e64 v11, s[4:5], v14, v15, vcc
	v_subrev_co_u32_e64 v14, s[4:5], s44, v7
	v_subbrev_co_u32_e64 v11, s[4:5], 0, v11, s[4:5]
	v_cmp_le_u32_e64 s[4:5], s45, v11
	v_cndmask_b32_e64 v15, 0, -1, s[4:5]
	v_cmp_le_u32_e64 s[4:5], s44, v14
	v_cndmask_b32_e64 v14, 0, -1, s[4:5]
	v_cmp_eq_u32_e64 s[4:5], s45, v11
	v_cndmask_b32_e64 v11, v15, v14, s[4:5]
	v_add_co_u32_e64 v14, s[4:5], 2, v9
	v_subb_co_u32_e32 v8, vcc, v13, v8, vcc
	v_addc_co_u32_e64 v15, s[4:5], 0, v10, s[4:5]
	v_cmp_le_u32_e32 vcc, s45, v8
	v_add_co_u32_e64 v16, s[4:5], 1, v9
	v_cndmask_b32_e64 v13, 0, -1, vcc
	v_cmp_le_u32_e32 vcc, s44, v7
	v_addc_co_u32_e64 v17, s[4:5], 0, v10, s[4:5]
	v_cndmask_b32_e64 v7, 0, -1, vcc
	v_cmp_eq_u32_e32 vcc, s45, v8
	v_cmp_ne_u32_e64 s[4:5], 0, v11
	v_cndmask_b32_e32 v7, v13, v7, vcc
	v_cmp_ne_u32_e32 vcc, 0, v7
	v_cndmask_b32_e64 v8, v16, v14, s[4:5]
	v_cndmask_b32_e64 v11, v17, v15, s[4:5]
	v_cndmask_b32_e32 v8, v9, v8, vcc
	v_cndmask_b32_e32 v7, v10, v11, vcc
	v_xor_b32_e32 v8, v8, v3
	v_xor_b32_e32 v7, v7, v3
	v_sub_co_u32_e32 v10, vcc, v8, v3
	v_subb_co_u32_e32 v11, vcc, v7, v3, vcc
.LBB6_13:                               ;   in Loop: Header=BB6_3 Depth=1
	s_andn2_saveexec_b64 s[4:5], s[40:41]
	s_cbranch_execz .LBB6_15
; %bb.14:                               ;   in Loop: Header=BB6_3 Depth=1
	v_cvt_f32_u32_e32 v3, s16
	s_sub_i32 s39, 0, s16
	v_mov_b32_e32 v11, v2
	v_rcp_iflag_f32_e32 v3, v3
	v_mul_f32_e32 v3, 0x4f7ffffe, v3
	v_cvt_u32_f32_e32 v3, v3
	v_mul_lo_u32 v7, s39, v3
	v_mul_hi_u32 v7, v3, v7
	v_add_u32_e32 v3, v3, v7
	v_mul_hi_u32 v3, v6, v3
	v_mul_lo_u32 v7, v3, s16
	v_add_u32_e32 v8, 1, v3
	v_sub_u32_e32 v7, v6, v7
	v_subrev_u32_e32 v9, s16, v7
	v_cmp_le_u32_e32 vcc, s16, v7
	v_cndmask_b32_e32 v7, v7, v9, vcc
	v_cndmask_b32_e32 v3, v3, v8, vcc
	v_add_u32_e32 v8, 1, v3
	v_cmp_le_u32_e32 vcc, s16, v7
	v_cndmask_b32_e32 v10, v3, v8, vcc
.LBB6_15:                               ;   in Loop: Header=BB6_3 Depth=1
	s_or_b64 exec, exec, s[4:5]
	v_mul_lo_u32 v3, v6, s17
	v_mul_lo_u32 v7, v10, s16
	v_sub_u32_e32 v3, v4, v3
	v_sub_u32_e32 v6, v6, v7
	v_mul_lo_u32 v6, s20, v6
	v_mul_lo_u32 v3, s21, v3
	v_subrev_u32_e32 v13, s22, v6
	v_subrev_u32_e32 v14, s23, v3
	v_add_u32_e32 v3, s18, v13
	v_add_u32_e32 v6, s19, v14
	v_min_i32_e32 v16, s46, v3
	v_min_i32_e32 v17, s47, v6
	v_max_i32_e32 v15, 0, v13
	v_max_i32_e32 v8, 0, v14
	v_min_i32_e32 v18, s12, v16
	v_min_i32_e32 v19, s14, v17
	v_cmp_gt_i32_e32 vcc, v18, v15
	v_cmp_gt_i32_e64 s[4:5], v19, v8
	v_lshlrev_b64 v[6:7], 1, v[0:1]
	s_and_b64 s[40:41], s[4:5], vcc
	v_mov_b32_e32 v3, 0
	s_and_saveexec_b64 s[4:5], s[40:41]
	s_cbranch_execz .LBB6_2
; %bb.16:                               ;   in Loop: Header=BB6_3 Depth=1
	v_mov_b32_e32 v9, v2
	v_mad_u64_u32 v[20:21], s[40:41], s14, v15, v[8:9]
	v_mul_lo_u32 v11, s6, v11
	v_mov_b32_e32 v3, v21
	v_mad_u64_u32 v[21:22], s[40:41], s15, v15, v[3:4]
	v_mul_lo_u32 v22, s7, v10
	v_lshlrev_b64 v[3:4], 1, v[4:5]
	v_lshlrev_b64 v[20:21], 1, v[20:21]
	v_mad_u64_u32 v[9:10], s[40:41], s6, v10, v[20:21]
	v_add3_u32 v5, v22, v10, v11
	v_sub_co_u32_e32 v3, vcc, v9, v3
	v_subb_co_u32_e32 v5, vcc, v5, v4, vcc
	v_mul_lo_u32 v9, s11, v3
	v_mad_u64_u32 v[3:4], s[40:41], s10, v3, v[6:7]
	v_mul_lo_u32 v5, s10, v5
	v_mov_b32_e32 v10, s9
	v_add_co_u32_e32 v3, vcc, s8, v3
	v_add3_u32 v4, v9, v4, v5
	v_addc_co_u32_e32 v4, vcc, v10, v4, vcc
	v_mov_b32_e32 v5, 0
	s_mov_b64 s[40:41], 0
	v_mov_b32_e32 v11, v15
.LBB6_17:                               ;   Parent Loop BB6_3 Depth=1
                                        ; =>  This Loop Header: Depth=2
                                        ;       Child Loop BB6_18 Depth 3
	v_mov_b32_e32 v10, v4
	s_mov_b64 s[42:43], 0
	v_mov_b32_e32 v9, v3
	v_mov_b32_e32 v20, v8
.LBB6_18:                               ;   Parent Loop BB6_3 Depth=1
                                        ;     Parent Loop BB6_17 Depth=2
                                        ; =>    This Inner Loop Header: Depth=3
	global_load_ushort v21, v[9:10], off
	v_mov_b32_e32 v22, s35
	v_add_co_u32_e32 v9, vcc, s34, v9
	v_add_u32_e32 v20, 1, v20
	v_addc_co_u32_e32 v10, vcc, v10, v22, vcc
	v_cmp_ge_i32_e32 vcc, v20, v19
	s_or_b64 s[42:43], vcc, s[42:43]
	s_waitcnt vmcnt(0)
	v_lshlrev_b32_e32 v21, 16, v21
	v_add_f32_e32 v5, v5, v21
	s_andn2_b64 exec, exec, s[42:43]
	s_cbranch_execnz .LBB6_18
; %bb.19:                               ;   in Loop: Header=BB6_17 Depth=2
	s_or_b64 exec, exec, s[42:43]
	v_add_u32_e32 v11, 1, v11
	v_cmp_ge_i32_e32 vcc, v11, v18
	v_mov_b32_e32 v9, s31
	s_or_b64 s[40:41], vcc, s[40:41]
	v_add_co_u32_e32 v3, vcc, s30, v3
	v_addc_co_u32_e32 v4, vcc, v4, v9, vcc
	s_andn2_b64 exec, exec, s[40:41]
	s_cbranch_execnz .LBB6_17
; %bb.20:                               ;   in Loop: Header=BB6_3 Depth=1
	s_or_b64 exec, exec, s[40:41]
	v_sub_u32_e32 v3, v16, v13
	v_sub_u32_e32 v4, v17, v14
	v_mul_lo_u32 v3, v3, v4
	v_sub_u32_e32 v4, v18, v15
	v_sub_u32_e32 v8, v19, v8
	v_mul_lo_u32 v4, v4, v8
	v_cndmask_b32_e64 v3, v4, v3, s[0:1]
	v_mov_b32_e32 v4, s26
	v_cndmask_b32_e64 v3, v3, v4, s[2:3]
	v_cvt_f32_i32_e32 v3, v3
	v_div_scale_f32 v4, s[40:41], v3, v3, v5
	v_div_scale_f32 v8, vcc, v5, v3, v5
	v_rcp_f32_e32 v9, v4
	v_fma_f32 v10, -v4, v9, 1.0
	v_fmac_f32_e32 v9, v10, v9
	v_mul_f32_e32 v10, v8, v9
	v_fma_f32 v11, -v4, v10, v8
	v_fmac_f32_e32 v10, v11, v9
	v_fma_f32 v4, -v4, v10, v8
	v_div_fmas_f32 v4, v4, v9, v10
	v_div_fixup_f32 v3, v4, v3, v5
	v_bfe_u32 v4, v3, 16, 1
	v_cmp_o_f32_e32 vcc, v3, v3
	v_add3_u32 v3, v3, v4, s13
	v_cndmask_b32_sdwa v3, v12, v3, vcc dst_sel:DWORD dst_unused:UNUSED_PAD src0_sel:DWORD src1_sel:WORD_1
	s_branch .LBB6_2
.LBB6_21:
	s_endpgm
	.section	.rodata,"a",@progbits
	.p2align	6, 0x0
	.amdhsa_kernel _ZN2at6native12_GLOBAL__N_130avg_pool2d_out_cuda_frame_nhwcIN3c108BFloat16EfEEviPKT_llliiiiiiiiPS5_ibb
		.amdhsa_group_segment_fixed_size 0
		.amdhsa_private_segment_fixed_size 0
		.amdhsa_kernarg_size 344
		.amdhsa_user_sgpr_count 6
		.amdhsa_user_sgpr_private_segment_buffer 1
		.amdhsa_user_sgpr_dispatch_ptr 0
		.amdhsa_user_sgpr_queue_ptr 0
		.amdhsa_user_sgpr_kernarg_segment_ptr 1
		.amdhsa_user_sgpr_dispatch_id 0
		.amdhsa_user_sgpr_flat_scratch_init 0
		.amdhsa_user_sgpr_private_segment_size 0
		.amdhsa_uses_dynamic_stack 0
		.amdhsa_system_sgpr_private_segment_wavefront_offset 0
		.amdhsa_system_sgpr_workgroup_id_x 1
		.amdhsa_system_sgpr_workgroup_id_y 0
		.amdhsa_system_sgpr_workgroup_id_z 0
		.amdhsa_system_sgpr_workgroup_info 0
		.amdhsa_system_vgpr_workitem_id 0
		.amdhsa_next_free_vgpr 23
		.amdhsa_next_free_sgpr 55
		.amdhsa_reserve_vcc 1
		.amdhsa_reserve_flat_scratch 0
		.amdhsa_float_round_mode_32 0
		.amdhsa_float_round_mode_16_64 0
		.amdhsa_float_denorm_mode_32 3
		.amdhsa_float_denorm_mode_16_64 3
		.amdhsa_dx10_clamp 1
		.amdhsa_ieee_mode 1
		.amdhsa_fp16_overflow 0
		.amdhsa_exception_fp_ieee_invalid_op 0
		.amdhsa_exception_fp_denorm_src 0
		.amdhsa_exception_fp_ieee_div_zero 0
		.amdhsa_exception_fp_ieee_overflow 0
		.amdhsa_exception_fp_ieee_underflow 0
		.amdhsa_exception_fp_ieee_inexact 0
		.amdhsa_exception_int_div_zero 0
	.end_amdhsa_kernel
	.section	.text._ZN2at6native12_GLOBAL__N_130avg_pool2d_out_cuda_frame_nhwcIN3c108BFloat16EfEEviPKT_llliiiiiiiiPS5_ibb,"axG",@progbits,_ZN2at6native12_GLOBAL__N_130avg_pool2d_out_cuda_frame_nhwcIN3c108BFloat16EfEEviPKT_llliiiiiiiiPS5_ibb,comdat
.Lfunc_end6:
	.size	_ZN2at6native12_GLOBAL__N_130avg_pool2d_out_cuda_frame_nhwcIN3c108BFloat16EfEEviPKT_llliiiiiiiiPS5_ibb, .Lfunc_end6-_ZN2at6native12_GLOBAL__N_130avg_pool2d_out_cuda_frame_nhwcIN3c108BFloat16EfEEviPKT_llliiiiiiiiPS5_ibb
                                        ; -- End function
	.set _ZN2at6native12_GLOBAL__N_130avg_pool2d_out_cuda_frame_nhwcIN3c108BFloat16EfEEviPKT_llliiiiiiiiPS5_ibb.num_vgpr, 23
	.set _ZN2at6native12_GLOBAL__N_130avg_pool2d_out_cuda_frame_nhwcIN3c108BFloat16EfEEviPKT_llliiiiiiiiPS5_ibb.num_agpr, 0
	.set _ZN2at6native12_GLOBAL__N_130avg_pool2d_out_cuda_frame_nhwcIN3c108BFloat16EfEEviPKT_llliiiiiiiiPS5_ibb.numbered_sgpr, 55
	.set _ZN2at6native12_GLOBAL__N_130avg_pool2d_out_cuda_frame_nhwcIN3c108BFloat16EfEEviPKT_llliiiiiiiiPS5_ibb.num_named_barrier, 0
	.set _ZN2at6native12_GLOBAL__N_130avg_pool2d_out_cuda_frame_nhwcIN3c108BFloat16EfEEviPKT_llliiiiiiiiPS5_ibb.private_seg_size, 0
	.set _ZN2at6native12_GLOBAL__N_130avg_pool2d_out_cuda_frame_nhwcIN3c108BFloat16EfEEviPKT_llliiiiiiiiPS5_ibb.uses_vcc, 1
	.set _ZN2at6native12_GLOBAL__N_130avg_pool2d_out_cuda_frame_nhwcIN3c108BFloat16EfEEviPKT_llliiiiiiiiPS5_ibb.uses_flat_scratch, 0
	.set _ZN2at6native12_GLOBAL__N_130avg_pool2d_out_cuda_frame_nhwcIN3c108BFloat16EfEEviPKT_llliiiiiiiiPS5_ibb.has_dyn_sized_stack, 0
	.set _ZN2at6native12_GLOBAL__N_130avg_pool2d_out_cuda_frame_nhwcIN3c108BFloat16EfEEviPKT_llliiiiiiiiPS5_ibb.has_recursion, 0
	.set _ZN2at6native12_GLOBAL__N_130avg_pool2d_out_cuda_frame_nhwcIN3c108BFloat16EfEEviPKT_llliiiiiiiiPS5_ibb.has_indirect_call, 0
	.section	.AMDGPU.csdata,"",@progbits
; Kernel info:
; codeLenInByte = 3024
; TotalNumSgprs: 59
; NumVgprs: 23
; ScratchSize: 0
; MemoryBound: 0
; FloatMode: 240
; IeeeMode: 1
; LDSByteSize: 0 bytes/workgroup (compile time only)
; SGPRBlocks: 7
; VGPRBlocks: 5
; NumSGPRsForWavesPerEU: 59
; NumVGPRsForWavesPerEU: 23
; Occupancy: 10
; WaveLimiterHint : 0
; COMPUTE_PGM_RSRC2:SCRATCH_EN: 0
; COMPUTE_PGM_RSRC2:USER_SGPR: 6
; COMPUTE_PGM_RSRC2:TRAP_HANDLER: 0
; COMPUTE_PGM_RSRC2:TGID_X_EN: 1
; COMPUTE_PGM_RSRC2:TGID_Y_EN: 0
; COMPUTE_PGM_RSRC2:TGID_Z_EN: 0
; COMPUTE_PGM_RSRC2:TIDIG_COMP_CNT: 0
	.section	.text._ZN2at6native12_GLOBAL__N_125avg_pool2d_out_cuda_frameIN3c108BFloat16EfEEviPKT_lllliiiiiiiPS5_ibb,"axG",@progbits,_ZN2at6native12_GLOBAL__N_125avg_pool2d_out_cuda_frameIN3c108BFloat16EfEEviPKT_lllliiiiiiiPS5_ibb,comdat
	.globl	_ZN2at6native12_GLOBAL__N_125avg_pool2d_out_cuda_frameIN3c108BFloat16EfEEviPKT_lllliiiiiiiPS5_ibb ; -- Begin function _ZN2at6native12_GLOBAL__N_125avg_pool2d_out_cuda_frameIN3c108BFloat16EfEEviPKT_lllliiiiiiiPS5_ibb
	.p2align	8
	.type	_ZN2at6native12_GLOBAL__N_125avg_pool2d_out_cuda_frameIN3c108BFloat16EfEEviPKT_lllliiiiiiiPS5_ibb,@function
_ZN2at6native12_GLOBAL__N_125avg_pool2d_out_cuda_frameIN3c108BFloat16EfEEviPKT_lllliiiiiiiPS5_ibb: ; @_ZN2at6native12_GLOBAL__N_125avg_pool2d_out_cuda_frameIN3c108BFloat16EfEEviPKT_lllliiiiiiiPS5_ibb
; %bb.0:
	s_load_dword s24, s[4:5], 0x0
	s_load_dword s0, s[4:5], 0x6c
	v_mov_b32_e32 v2, 0
	v_mov_b32_e32 v1, v2
	;; [unrolled: 1-line block ×3, first 2 shown]
	s_waitcnt lgkmcnt(0)
	s_ashr_i32 s25, s24, 31
	s_add_u32 s28, s4, 0x60
	s_addc_u32 s29, s5, 0
	s_and_b32 s30, s0, 0xffff
	v_mad_u64_u32 v[0:1], s[0:1], s30, v3, v[0:1]
	v_cmp_gt_i64_e32 vcc, s[24:25], v[0:1]
	s_and_saveexec_b64 s[0:1], vcc
	s_cbranch_execz .LBB7_13
; %bb.1:
	s_load_dwordx4 s[16:19], s[4:5], 0x50
	s_load_dword s2, s[4:5], 0x5c
	s_load_dwordx8 s[8:15], s[4:5], 0x30
	s_load_dwordx2 s[6:7], s[4:5], 0x8
	s_load_dwordx4 s[20:23], s[4:5], 0x18
	s_load_dwordx2 s[26:27], s[4:5], 0x28
	s_load_dword s31, s[28:29], 0x0
	s_waitcnt lgkmcnt(0)
	s_bitcmp1_b32 s19, 0
	s_cselect_b64 s[0:1], -1, 0
	s_bitcmp1_b32 s2, 8
	s_cselect_b64 s[2:3], -1, 0
	s_abs_i32 s15, s8
	v_cvt_f32_u32_e32 v3, s15
	s_sub_i32 s4, 0, s15
	s_mov_b64 s[28:29], 0
	s_movk_i32 s19, 0x7fff
	v_rcp_iflag_f32_e32 v3, v3
	s_mul_i32 s33, s31, s30
	s_add_i32 s42, s13, s20
	s_add_i32 s43, s14, s22
	v_mul_f32_e32 v3, 0x4f7ffffe, v3
	v_cvt_u32_f32_e32 v3, v3
	s_ashr_i32 s44, s8, 31
	s_lshl_b64 s[30:31], s[20:21], 1
	s_lshl_b64 s[34:35], s[22:23], 1
	v_mul_lo_u32 v4, s4, v3
	s_ashr_i32 s36, s27, 31
	v_mov_b32_e32 v8, 0x7fc0
	v_mul_hi_u32 v4, v3, v4
	v_add_u32_e32 v7, v3, v4
	s_branch .LBB7_3
.LBB7_2:                                ;   in Loop: Header=BB7_3 Depth=1
	s_or_b64 exec, exec, s[4:5]
	v_lshlrev_b64 v[3:4], 1, v[0:1]
	v_add_co_u32_e32 v0, vcc, s33, v0
	v_addc_co_u32_e32 v1, vcc, 0, v1, vcc
	v_cmp_le_i64_e32 vcc, s[24:25], v[0:1]
	v_mov_b32_e32 v6, s17
	v_add_co_u32_e64 v3, s[4:5], s16, v3
	v_addc_co_u32_e64 v4, s[4:5], v6, v4, s[4:5]
	s_or_b64 s[28:29], vcc, s[28:29]
	global_store_short v[3:4], v5, off
	s_andn2_b64 exec, exec, s[28:29]
	s_cbranch_execz .LBB7_13
.LBB7_3:                                ; =>This Loop Header: Depth=1
                                        ;     Child Loop BB7_9 Depth 2
                                        ;       Child Loop BB7_10 Depth 3
	v_sub_u32_e32 v3, 0, v0
	v_max_i32_e32 v3, v0, v3
	v_mul_hi_u32 v4, v3, v7
	v_ashrrev_i32_e32 v6, 31, v0
	v_xor_b32_e32 v6, s44, v6
	v_mul_lo_u32 v5, v4, s15
	v_add_u32_e32 v9, 1, v4
	v_sub_u32_e32 v3, v3, v5
	v_cmp_le_u32_e32 vcc, s15, v3
	v_subrev_u32_e32 v5, s15, v3
	v_cndmask_b32_e32 v4, v4, v9, vcc
	v_cndmask_b32_e32 v3, v3, v5, vcc
	v_add_u32_e32 v5, 1, v4
	v_cmp_le_u32_e32 vcc, s15, v3
	v_cndmask_b32_e32 v3, v4, v5, vcc
	v_xor_b32_e32 v3, v3, v6
	v_sub_u32_e32 v5, v3, v6
	v_ashrrev_i32_e32 v6, 31, v5
	v_or_b32_e32 v3, s27, v6
	v_cmp_ne_u64_e32 vcc, 0, v[2:3]
                                        ; implicit-def: $vgpr3_vgpr4
	s_and_saveexec_b64 s[4:5], vcc
	s_xor_b64 s[38:39], exec, s[4:5]
	s_cbranch_execz .LBB7_5
; %bb.4:                                ;   in Loop: Header=BB7_3 Depth=1
	s_add_u32 s4, s26, s36
	s_mov_b32 s37, s36
	s_addc_u32 s5, s27, s36
	s_xor_b64 s[40:41], s[4:5], s[36:37]
	v_cvt_f32_u32_e32 v3, s40
	v_cvt_f32_u32_e32 v4, s41
	s_sub_u32 s21, 0, s40
	s_subb_u32 s37, 0, s41
	v_ashrrev_i32_e32 v11, 31, v6
	v_mac_f32_e32 v3, 0x4f800000, v4
	v_rcp_f32_e32 v3, v3
	v_mul_f32_e32 v3, 0x5f7ffffc, v3
	v_mul_f32_e32 v4, 0x2f800000, v3
	v_trunc_f32_e32 v4, v4
	v_mac_f32_e32 v3, 0xcf800000, v4
	v_cvt_u32_f32_e32 v4, v4
	v_cvt_u32_f32_e32 v3, v3
	v_readfirstlane_b32 s45, v4
	v_readfirstlane_b32 s4, v3
	s_mul_i32 s5, s21, s45
	s_mul_hi_u32 s47, s21, s4
	s_mul_i32 s46, s37, s4
	s_add_i32 s5, s47, s5
	s_add_i32 s5, s5, s46
	s_mul_i32 s48, s21, s4
	s_mul_i32 s47, s4, s5
	s_mul_hi_u32 s49, s4, s48
	s_mul_hi_u32 s46, s4, s5
	s_add_u32 s47, s49, s47
	s_addc_u32 s46, 0, s46
	s_mul_hi_u32 s50, s45, s48
	s_mul_i32 s48, s45, s48
	s_add_u32 s47, s47, s48
	s_mul_hi_u32 s49, s45, s5
	s_addc_u32 s46, s46, s50
	s_addc_u32 s47, s49, 0
	s_mul_i32 s5, s45, s5
	s_add_u32 s5, s46, s5
	s_addc_u32 s46, 0, s47
	s_add_u32 s47, s4, s5
	s_cselect_b64 s[4:5], -1, 0
	s_cmp_lg_u64 s[4:5], 0
	s_addc_u32 s45, s45, s46
	s_mul_i32 s4, s21, s45
	s_mul_hi_u32 s5, s21, s47
	s_add_i32 s4, s5, s4
	s_mul_i32 s37, s37, s47
	s_add_i32 s4, s4, s37
	s_mul_i32 s21, s21, s47
	s_mul_hi_u32 s37, s45, s21
	s_mul_i32 s46, s45, s21
	s_mul_i32 s49, s47, s4
	s_mul_hi_u32 s21, s47, s21
	s_mul_hi_u32 s48, s47, s4
	s_add_u32 s21, s21, s49
	s_addc_u32 s48, 0, s48
	s_add_u32 s21, s21, s46
	s_mul_hi_u32 s5, s45, s4
	s_addc_u32 s21, s48, s37
	s_addc_u32 s5, s5, 0
	s_mul_i32 s4, s45, s4
	s_add_u32 s4, s21, s4
	s_addc_u32 s21, 0, s5
	s_add_u32 s37, s47, s4
	s_cselect_b64 s[4:5], -1, 0
	s_cmp_lg_u64 s[4:5], 0
	v_add_co_u32_e32 v3, vcc, v5, v11
	s_addc_u32 s21, s45, s21
	v_xor_b32_e32 v12, v3, v11
	v_mad_u64_u32 v[3:4], s[4:5], v12, s21, 0
	v_mul_hi_u32 v9, v12, s37
	v_addc_co_u32_e32 v6, vcc, v6, v11, vcc
	v_xor_b32_e32 v6, v6, v11
	v_add_co_u32_e32 v13, vcc, v9, v3
	v_addc_co_u32_e32 v14, vcc, 0, v4, vcc
	v_mad_u64_u32 v[3:4], s[4:5], v6, s37, 0
	v_mad_u64_u32 v[9:10], s[4:5], v6, s21, 0
	v_add_co_u32_e32 v3, vcc, v13, v3
	v_addc_co_u32_e32 v3, vcc, v14, v4, vcc
	v_addc_co_u32_e32 v4, vcc, 0, v10, vcc
	v_add_co_u32_e32 v9, vcc, v3, v9
	v_addc_co_u32_e32 v10, vcc, 0, v4, vcc
	v_mul_lo_u32 v13, s41, v9
	v_mul_lo_u32 v14, s40, v10
	v_mad_u64_u32 v[3:4], s[4:5], s40, v9, 0
	v_add3_u32 v4, v4, v14, v13
	v_sub_u32_e32 v13, v6, v4
	v_mov_b32_e32 v14, s41
	v_sub_co_u32_e32 v3, vcc, v12, v3
	v_subb_co_u32_e64 v12, s[4:5], v13, v14, vcc
	v_subrev_co_u32_e64 v13, s[4:5], s40, v3
	v_subbrev_co_u32_e64 v12, s[4:5], 0, v12, s[4:5]
	v_cmp_le_u32_e64 s[4:5], s41, v12
	v_cndmask_b32_e64 v14, 0, -1, s[4:5]
	v_cmp_le_u32_e64 s[4:5], s40, v13
	v_cndmask_b32_e64 v13, 0, -1, s[4:5]
	v_cmp_eq_u32_e64 s[4:5], s41, v12
	v_cndmask_b32_e64 v12, v14, v13, s[4:5]
	v_add_co_u32_e64 v13, s[4:5], 2, v9
	v_subb_co_u32_e32 v4, vcc, v6, v4, vcc
	v_addc_co_u32_e64 v14, s[4:5], 0, v10, s[4:5]
	v_cmp_le_u32_e32 vcc, s41, v4
	v_add_co_u32_e64 v15, s[4:5], 1, v9
	v_cndmask_b32_e64 v6, 0, -1, vcc
	v_cmp_le_u32_e32 vcc, s40, v3
	v_addc_co_u32_e64 v16, s[4:5], 0, v10, s[4:5]
	v_cndmask_b32_e64 v3, 0, -1, vcc
	v_cmp_eq_u32_e32 vcc, s41, v4
	v_cmp_ne_u32_e64 s[4:5], 0, v12
	v_cndmask_b32_e32 v3, v6, v3, vcc
	v_cndmask_b32_e64 v12, v16, v14, s[4:5]
	v_cmp_ne_u32_e32 vcc, 0, v3
	v_cndmask_b32_e64 v4, v15, v13, s[4:5]
	v_cndmask_b32_e32 v3, v10, v12, vcc
	v_cndmask_b32_e32 v4, v9, v4, vcc
	v_xor_b32_e32 v6, s36, v11
	v_xor_b32_e32 v9, v3, v6
	;; [unrolled: 1-line block ×3, first 2 shown]
	v_sub_co_u32_e32 v3, vcc, v3, v6
	v_subb_co_u32_e32 v4, vcc, v9, v6, vcc
.LBB7_5:                                ;   in Loop: Header=BB7_3 Depth=1
	s_andn2_saveexec_b64 s[4:5], s[38:39]
	s_cbranch_execz .LBB7_7
; %bb.6:                                ;   in Loop: Header=BB7_3 Depth=1
	v_cvt_f32_u32_e32 v3, s26
	s_sub_i32 s21, 0, s26
	v_rcp_iflag_f32_e32 v3, v3
	v_mul_f32_e32 v3, 0x4f7ffffe, v3
	v_cvt_u32_f32_e32 v3, v3
	v_mul_lo_u32 v4, s21, v3
	v_mul_hi_u32 v4, v3, v4
	v_add_u32_e32 v3, v3, v4
	v_mul_hi_u32 v3, v5, v3
	v_mul_lo_u32 v4, v3, s26
	v_add_u32_e32 v6, 1, v3
	v_sub_u32_e32 v4, v5, v4
	v_subrev_u32_e32 v9, s26, v4
	v_cmp_le_u32_e32 vcc, s26, v4
	v_cndmask_b32_e32 v4, v4, v9, vcc
	v_cndmask_b32_e32 v3, v3, v6, vcc
	v_add_u32_e32 v6, 1, v3
	v_cmp_le_u32_e32 vcc, s26, v4
	v_cndmask_b32_e32 v3, v3, v6, vcc
	v_mov_b32_e32 v4, v2
.LBB7_7:                                ;   in Loop: Header=BB7_3 Depth=1
	s_or_b64 exec, exec, s[4:5]
	v_mul_lo_u32 v6, v5, s8
	v_mul_lo_u32 v9, v3, s26
	v_sub_u32_e32 v6, v0, v6
	v_sub_u32_e32 v5, v5, v9
	v_mul_lo_u32 v5, s11, v5
	v_mul_lo_u32 v6, v6, s12
	v_subrev_u32_e32 v9, s13, v5
	v_subrev_u32_e32 v10, s14, v6
	v_add_u32_e32 v5, s9, v9
	v_add_u32_e32 v6, s10, v10
	v_min_i32_e32 v13, s42, v5
	v_min_i32_e32 v14, s43, v6
	v_max_i32_e32 v11, 0, v9
	v_max_i32_e32 v12, 0, v10
	v_min_i32_e32 v15, s20, v13
	v_min_i32_e32 v16, s22, v14
	v_cmp_gt_i32_e32 vcc, v15, v11
	v_cmp_gt_i32_e64 s[4:5], v16, v12
	s_and_b64 s[38:39], s[4:5], vcc
	v_mov_b32_e32 v5, 0
	s_and_saveexec_b64 s[4:5], s[38:39]
	s_cbranch_execz .LBB7_2
; %bb.8:                                ;   in Loop: Header=BB7_3 Depth=1
	v_lshlrev_b32_e32 v5, 1, v11
	v_mov_b32_e32 v6, v2
	v_mul_lo_u32 v17, s30, v4
	v_mul_lo_u32 v18, s31, v3
	v_mad_u64_u32 v[3:4], s[38:39], s30, v3, v[5:6]
	v_mov_b32_e32 v5, v2
	v_add3_u32 v6, v18, v4, v17
	v_lshlrev_b32_e32 v4, 1, v12
	v_mul_lo_u32 v6, s22, v6
	v_mad_u64_u32 v[4:5], s[38:39], s22, v3, v[4:5]
	v_mul_lo_u32 v3, s23, v3
	v_mov_b32_e32 v17, 0
	s_mov_b64 s[38:39], 0
	v_mov_b32_e32 v18, v11
	v_add3_u32 v5, v3, v5, v6
	v_mov_b32_e32 v6, s7
	v_add_co_u32_e32 v3, vcc, s6, v4
	v_addc_co_u32_e32 v4, vcc, v6, v5, vcc
.LBB7_9:                                ;   Parent Loop BB7_3 Depth=1
                                        ; =>  This Loop Header: Depth=2
                                        ;       Child Loop BB7_10 Depth 3
	v_mov_b32_e32 v6, v4
	s_mov_b64 s[40:41], 0
	v_mov_b32_e32 v5, v3
	v_mov_b32_e32 v19, v12
.LBB7_10:                               ;   Parent Loop BB7_3 Depth=1
                                        ;     Parent Loop BB7_9 Depth=2
                                        ; =>    This Inner Loop Header: Depth=3
	global_load_ushort v20, v[5:6], off
	v_add_co_u32_e32 v5, vcc, 2, v5
	v_add_u32_e32 v19, 1, v19
	v_addc_co_u32_e32 v6, vcc, 0, v6, vcc
	v_cmp_ge_i32_e32 vcc, v19, v16
	s_or_b64 s[40:41], vcc, s[40:41]
	s_waitcnt vmcnt(0)
	v_lshlrev_b32_e32 v20, 16, v20
	v_add_f32_e32 v17, v17, v20
	s_andn2_b64 exec, exec, s[40:41]
	s_cbranch_execnz .LBB7_10
; %bb.11:                               ;   in Loop: Header=BB7_9 Depth=2
	s_or_b64 exec, exec, s[40:41]
	v_add_u32_e32 v18, 1, v18
	v_cmp_ge_i32_e32 vcc, v18, v15
	v_mov_b32_e32 v5, s35
	s_or_b64 s[38:39], vcc, s[38:39]
	v_add_co_u32_e32 v3, vcc, s34, v3
	v_addc_co_u32_e32 v4, vcc, v4, v5, vcc
	s_andn2_b64 exec, exec, s[38:39]
	s_cbranch_execnz .LBB7_9
; %bb.12:                               ;   in Loop: Header=BB7_3 Depth=1
	s_or_b64 exec, exec, s[38:39]
	v_sub_u32_e32 v3, v13, v9
	v_sub_u32_e32 v4, v14, v10
	v_mul_lo_u32 v3, v3, v4
	v_sub_u32_e32 v4, v15, v11
	v_sub_u32_e32 v5, v16, v12
	v_mul_lo_u32 v4, v4, v5
	v_cndmask_b32_e64 v3, v4, v3, s[0:1]
	v_mov_b32_e32 v4, s18
	v_cndmask_b32_e64 v3, v3, v4, s[2:3]
	v_cvt_f32_i32_e32 v3, v3
	v_div_scale_f32 v4, s[38:39], v3, v3, v17
	v_div_scale_f32 v5, vcc, v17, v3, v17
	v_rcp_f32_e32 v6, v4
	v_fma_f32 v9, -v4, v6, 1.0
	v_fmac_f32_e32 v6, v9, v6
	v_mul_f32_e32 v9, v5, v6
	v_fma_f32 v10, -v4, v9, v5
	v_fmac_f32_e32 v9, v10, v6
	v_fma_f32 v4, -v4, v9, v5
	v_div_fmas_f32 v4, v4, v6, v9
	v_div_fixup_f32 v3, v4, v3, v17
	v_bfe_u32 v4, v3, 16, 1
	v_cmp_o_f32_e32 vcc, v3, v3
	v_add3_u32 v3, v3, v4, s19
	v_cndmask_b32_sdwa v5, v8, v3, vcc dst_sel:DWORD dst_unused:UNUSED_PAD src0_sel:DWORD src1_sel:WORD_1
	s_branch .LBB7_2
.LBB7_13:
	s_endpgm
	.section	.rodata,"a",@progbits
	.p2align	6, 0x0
	.amdhsa_kernel _ZN2at6native12_GLOBAL__N_125avg_pool2d_out_cuda_frameIN3c108BFloat16EfEEviPKT_lllliiiiiiiPS5_ibb
		.amdhsa_group_segment_fixed_size 0
		.amdhsa_private_segment_fixed_size 0
		.amdhsa_kernarg_size 352
		.amdhsa_user_sgpr_count 6
		.amdhsa_user_sgpr_private_segment_buffer 1
		.amdhsa_user_sgpr_dispatch_ptr 0
		.amdhsa_user_sgpr_queue_ptr 0
		.amdhsa_user_sgpr_kernarg_segment_ptr 1
		.amdhsa_user_sgpr_dispatch_id 0
		.amdhsa_user_sgpr_flat_scratch_init 0
		.amdhsa_user_sgpr_private_segment_size 0
		.amdhsa_uses_dynamic_stack 0
		.amdhsa_system_sgpr_private_segment_wavefront_offset 0
		.amdhsa_system_sgpr_workgroup_id_x 1
		.amdhsa_system_sgpr_workgroup_id_y 0
		.amdhsa_system_sgpr_workgroup_id_z 0
		.amdhsa_system_sgpr_workgroup_info 0
		.amdhsa_system_vgpr_workitem_id 0
		.amdhsa_next_free_vgpr 21
		.amdhsa_next_free_sgpr 51
		.amdhsa_reserve_vcc 1
		.amdhsa_reserve_flat_scratch 0
		.amdhsa_float_round_mode_32 0
		.amdhsa_float_round_mode_16_64 0
		.amdhsa_float_denorm_mode_32 3
		.amdhsa_float_denorm_mode_16_64 3
		.amdhsa_dx10_clamp 1
		.amdhsa_ieee_mode 1
		.amdhsa_fp16_overflow 0
		.amdhsa_exception_fp_ieee_invalid_op 0
		.amdhsa_exception_fp_denorm_src 0
		.amdhsa_exception_fp_ieee_div_zero 0
		.amdhsa_exception_fp_ieee_overflow 0
		.amdhsa_exception_fp_ieee_underflow 0
		.amdhsa_exception_fp_ieee_inexact 0
		.amdhsa_exception_int_div_zero 0
	.end_amdhsa_kernel
	.section	.text._ZN2at6native12_GLOBAL__N_125avg_pool2d_out_cuda_frameIN3c108BFloat16EfEEviPKT_lllliiiiiiiPS5_ibb,"axG",@progbits,_ZN2at6native12_GLOBAL__N_125avg_pool2d_out_cuda_frameIN3c108BFloat16EfEEviPKT_lllliiiiiiiPS5_ibb,comdat
.Lfunc_end7:
	.size	_ZN2at6native12_GLOBAL__N_125avg_pool2d_out_cuda_frameIN3c108BFloat16EfEEviPKT_lllliiiiiiiPS5_ibb, .Lfunc_end7-_ZN2at6native12_GLOBAL__N_125avg_pool2d_out_cuda_frameIN3c108BFloat16EfEEviPKT_lllliiiiiiiPS5_ibb
                                        ; -- End function
	.set _ZN2at6native12_GLOBAL__N_125avg_pool2d_out_cuda_frameIN3c108BFloat16EfEEviPKT_lllliiiiiiiPS5_ibb.num_vgpr, 21
	.set _ZN2at6native12_GLOBAL__N_125avg_pool2d_out_cuda_frameIN3c108BFloat16EfEEviPKT_lllliiiiiiiPS5_ibb.num_agpr, 0
	.set _ZN2at6native12_GLOBAL__N_125avg_pool2d_out_cuda_frameIN3c108BFloat16EfEEviPKT_lllliiiiiiiPS5_ibb.numbered_sgpr, 51
	.set _ZN2at6native12_GLOBAL__N_125avg_pool2d_out_cuda_frameIN3c108BFloat16EfEEviPKT_lllliiiiiiiPS5_ibb.num_named_barrier, 0
	.set _ZN2at6native12_GLOBAL__N_125avg_pool2d_out_cuda_frameIN3c108BFloat16EfEEviPKT_lllliiiiiiiPS5_ibb.private_seg_size, 0
	.set _ZN2at6native12_GLOBAL__N_125avg_pool2d_out_cuda_frameIN3c108BFloat16EfEEviPKT_lllliiiiiiiPS5_ibb.uses_vcc, 1
	.set _ZN2at6native12_GLOBAL__N_125avg_pool2d_out_cuda_frameIN3c108BFloat16EfEEviPKT_lllliiiiiiiPS5_ibb.uses_flat_scratch, 0
	.set _ZN2at6native12_GLOBAL__N_125avg_pool2d_out_cuda_frameIN3c108BFloat16EfEEviPKT_lllliiiiiiiPS5_ibb.has_dyn_sized_stack, 0
	.set _ZN2at6native12_GLOBAL__N_125avg_pool2d_out_cuda_frameIN3c108BFloat16EfEEviPKT_lllliiiiiiiPS5_ibb.has_recursion, 0
	.set _ZN2at6native12_GLOBAL__N_125avg_pool2d_out_cuda_frameIN3c108BFloat16EfEEviPKT_lllliiiiiiiPS5_ibb.has_indirect_call, 0
	.section	.AMDGPU.csdata,"",@progbits
; Kernel info:
; codeLenInByte = 1604
; TotalNumSgprs: 55
; NumVgprs: 21
; ScratchSize: 0
; MemoryBound: 0
; FloatMode: 240
; IeeeMode: 1
; LDSByteSize: 0 bytes/workgroup (compile time only)
; SGPRBlocks: 6
; VGPRBlocks: 5
; NumSGPRsForWavesPerEU: 55
; NumVGPRsForWavesPerEU: 21
; Occupancy: 10
; WaveLimiterHint : 0
; COMPUTE_PGM_RSRC2:SCRATCH_EN: 0
; COMPUTE_PGM_RSRC2:USER_SGPR: 6
; COMPUTE_PGM_RSRC2:TRAP_HANDLER: 0
; COMPUTE_PGM_RSRC2:TGID_X_EN: 1
; COMPUTE_PGM_RSRC2:TGID_Y_EN: 0
; COMPUTE_PGM_RSRC2:TGID_Z_EN: 0
; COMPUTE_PGM_RSRC2:TIDIG_COMP_CNT: 0
	.section	.text._ZN2at6native12_GLOBAL__N_139avg_pool2d_backward_out_cuda_frame_nhwcIddiEEvT1_PKT_llliiiiiiiiPS4_ibb,"axG",@progbits,_ZN2at6native12_GLOBAL__N_139avg_pool2d_backward_out_cuda_frame_nhwcIddiEEvT1_PKT_llliiiiiiiiPS4_ibb,comdat
	.globl	_ZN2at6native12_GLOBAL__N_139avg_pool2d_backward_out_cuda_frame_nhwcIddiEEvT1_PKT_llliiiiiiiiPS4_ibb ; -- Begin function _ZN2at6native12_GLOBAL__N_139avg_pool2d_backward_out_cuda_frame_nhwcIddiEEvT1_PKT_llliiiiiiiiPS4_ibb
	.p2align	8
	.type	_ZN2at6native12_GLOBAL__N_139avg_pool2d_backward_out_cuda_frame_nhwcIddiEEvT1_PKT_llliiiiiiiiPS4_ibb,@function
_ZN2at6native12_GLOBAL__N_139avg_pool2d_backward_out_cuda_frame_nhwcIddiEEvT1_PKT_llliiiiiiiiPS4_ibb: ; @_ZN2at6native12_GLOBAL__N_139avg_pool2d_backward_out_cuda_frame_nhwcIddiEEvT1_PKT_llliiiiiiiiPS4_ibb
; %bb.0:
	s_load_dword s28, s[4:5], 0x0
	s_load_dword s0, s[4:5], 0x64
	v_mov_b32_e32 v2, 0
	v_mov_b32_e32 v1, v2
	;; [unrolled: 1-line block ×3, first 2 shown]
	s_waitcnt lgkmcnt(0)
	s_ashr_i32 s29, s28, 31
	s_add_u32 s30, s4, 0x58
	s_addc_u32 s31, s5, 0
	s_and_b32 s7, s0, 0xffff
	v_mad_u64_u32 v[0:1], s[0:1], s7, v3, v[0:1]
	v_cmp_gt_i64_e32 vcc, s[28:29], v[0:1]
	s_and_saveexec_b64 s[0:1], vcc
	s_cbranch_execz .LBB8_29
; %bb.1:
	s_load_dwordx4 s[24:27], s[4:5], 0x48
	s_load_dword s2, s[4:5], 0x54
	s_load_dwordx8 s[8:15], s[4:5], 0x8
	s_load_dwordx8 s[16:23], s[4:5], 0x28
	s_waitcnt lgkmcnt(0)
	s_bitcmp1_b32 s27, 0
	s_cselect_b64 s[0:1], -1, 0
	s_bitcmp1_b32 s2, 8
	s_cselect_b64 s[2:3], -1, 0
	s_ashr_i32 s5, s16, 31
	s_mul_hi_u32 s27, s10, s16
	s_mul_i32 s5, s10, s5
	s_load_dword s4, s[30:31], 0x0
	s_ashr_i32 s6, s17, 31
	s_add_i32 s5, s27, s5
	s_mul_i32 s27, s11, s16
	s_mul_i32 s30, s10, s16
	s_add_i32 s5, s5, s27
	s_mul_i32 s6, s30, s6
	s_mul_hi_u32 s27, s30, s17
	s_add_i32 s6, s27, s6
	s_abs_i32 s27, s20
	v_cvt_f32_u32_e32 v3, s27
	s_abs_i32 s33, s21
	v_cvt_f32_u32_e32 v4, s33
	s_mul_i32 s5, s5, s17
	v_rcp_iflag_f32_e32 v3, v3
	s_add_i32 s46, s6, s5
	v_rcp_iflag_f32_e32 v4, v4
	s_sub_i32 s5, 0, s27
	v_mul_f32_e32 v3, 0x4f7ffffe, v3
	v_cvt_u32_f32_e32 v3, v3
	v_mul_f32_e32 v4, 0x4f7ffffe, v4
	v_cvt_u32_f32_e32 v4, v4
	s_mul_i32 s47, s30, s17
	v_mul_lo_u32 v5, s5, v3
	s_sub_i32 s5, 0, s33
	v_mul_lo_u32 v6, s5, v4
	s_add_i32 s48, s22, s12
	v_mul_hi_u32 v5, v3, v5
	s_add_i32 s49, s23, s14
	v_mul_hi_u32 v6, v4, v6
	s_waitcnt lgkmcnt(0)
	s_mul_i32 s50, s4, s7
	s_ashr_i32 s51, s20, 31
	v_add_u32_e32 v10, v3, v5
	s_ashr_i32 s52, s21, 31
	v_add_u32_e32 v11, v4, v6
	s_sub_i32 s53, 0, s23
	s_sub_i32 s54, s19, s23
	s_mov_b64 s[30:31], 0
	s_ashr_i32 s34, s11, 31
	s_branch .LBB8_4
.LBB8_2:                                ;   in Loop: Header=BB8_4 Depth=1
	s_or_b64 exec, exec, s[38:39]
.LBB8_3:                                ;   in Loop: Header=BB8_4 Depth=1
	s_or_b64 exec, exec, s[36:37]
	v_lshlrev_b64 v[3:4], 3, v[0:1]
	v_add_co_u32_e32 v0, vcc, s50, v0
	v_addc_co_u32_e32 v1, vcc, 0, v1, vcc
	v_cmp_le_i64_e32 vcc, s[28:29], v[0:1]
	v_mov_b32_e32 v5, s25
	v_add_co_u32_e64 v3, s[4:5], s24, v3
	v_addc_co_u32_e64 v4, s[4:5], v5, v4, s[4:5]
	s_or_b64 s[30:31], vcc, s[30:31]
	global_store_dwordx2 v[3:4], v[6:7], off
	s_andn2_b64 exec, exec, s[30:31]
	s_cbranch_execz .LBB8_29
.LBB8_4:                                ; =>This Loop Header: Depth=1
                                        ;     Child Loop BB8_24 Depth 2
                                        ;       Child Loop BB8_27 Depth 3
	v_or_b32_e32 v3, s11, v1
	v_cmp_ne_u64_e32 vcc, 0, v[2:3]
                                        ; implicit-def: $vgpr4_vgpr5
	s_and_saveexec_b64 s[4:5], vcc
	s_xor_b64 s[6:7], exec, s[4:5]
	s_cbranch_execz .LBB8_6
; %bb.5:                                ;   in Loop: Header=BB8_4 Depth=1
	s_add_u32 s4, s10, s34
	s_mov_b32 s35, s34
	s_addc_u32 s5, s11, s34
	s_xor_b64 s[36:37], s[4:5], s[34:35]
	v_cvt_f32_u32_e32 v3, s36
	v_cvt_f32_u32_e32 v4, s37
	s_sub_u32 s35, 0, s36
	s_subb_u32 s38, 0, s37
	v_ashrrev_i32_e32 v7, 31, v1
	v_mac_f32_e32 v3, 0x4f800000, v4
	v_rcp_f32_e32 v3, v3
	v_mul_f32_e32 v3, 0x5f7ffffc, v3
	v_mul_f32_e32 v4, 0x2f800000, v3
	v_trunc_f32_e32 v4, v4
	v_mac_f32_e32 v3, 0xcf800000, v4
	v_cvt_u32_f32_e32 v4, v4
	v_cvt_u32_f32_e32 v3, v3
	v_readfirstlane_b32 s39, v4
	v_readfirstlane_b32 s4, v3
	s_mul_i32 s5, s35, s39
	s_mul_hi_u32 s41, s35, s4
	s_mul_i32 s40, s38, s4
	s_add_i32 s5, s41, s5
	s_add_i32 s5, s5, s40
	s_mul_i32 s42, s35, s4
	s_mul_i32 s41, s4, s5
	s_mul_hi_u32 s43, s4, s42
	s_mul_hi_u32 s40, s4, s5
	s_add_u32 s41, s43, s41
	s_addc_u32 s40, 0, s40
	s_mul_hi_u32 s44, s39, s42
	s_mul_i32 s42, s39, s42
	s_add_u32 s41, s41, s42
	s_mul_hi_u32 s43, s39, s5
	s_addc_u32 s40, s40, s44
	s_addc_u32 s41, s43, 0
	s_mul_i32 s5, s39, s5
	s_add_u32 s5, s40, s5
	s_addc_u32 s40, 0, s41
	s_add_u32 s41, s4, s5
	s_cselect_b64 s[4:5], -1, 0
	s_cmp_lg_u64 s[4:5], 0
	s_addc_u32 s39, s39, s40
	s_mul_i32 s4, s35, s39
	s_mul_hi_u32 s5, s35, s41
	s_add_i32 s4, s5, s4
	s_mul_i32 s38, s38, s41
	s_add_i32 s4, s4, s38
	s_mul_i32 s35, s35, s41
	s_mul_hi_u32 s38, s39, s35
	s_mul_i32 s40, s39, s35
	s_mul_i32 s43, s41, s4
	s_mul_hi_u32 s35, s41, s35
	s_mul_hi_u32 s42, s41, s4
	s_add_u32 s35, s35, s43
	s_addc_u32 s42, 0, s42
	s_add_u32 s35, s35, s40
	s_mul_hi_u32 s5, s39, s4
	s_addc_u32 s35, s42, s38
	s_addc_u32 s5, s5, 0
	s_mul_i32 s4, s39, s4
	s_add_u32 s4, s35, s4
	s_addc_u32 s35, 0, s5
	s_add_u32 s38, s41, s4
	s_cselect_b64 s[4:5], -1, 0
	s_cmp_lg_u64 s[4:5], 0
	v_add_co_u32_e32 v3, vcc, v0, v7
	s_addc_u32 s35, s39, s35
	v_xor_b32_e32 v8, v3, v7
	v_mad_u64_u32 v[3:4], s[4:5], v8, s35, 0
	v_mul_hi_u32 v6, v8, s38
	v_addc_co_u32_e32 v5, vcc, v1, v7, vcc
	v_xor_b32_e32 v9, v5, v7
	v_add_co_u32_e32 v12, vcc, v6, v3
	v_addc_co_u32_e32 v13, vcc, 0, v4, vcc
	v_mad_u64_u32 v[3:4], s[4:5], v9, s38, 0
	v_mad_u64_u32 v[5:6], s[4:5], v9, s35, 0
	v_add_co_u32_e32 v3, vcc, v12, v3
	v_addc_co_u32_e32 v3, vcc, v13, v4, vcc
	v_addc_co_u32_e32 v4, vcc, 0, v6, vcc
	v_add_co_u32_e32 v5, vcc, v3, v5
	v_addc_co_u32_e32 v6, vcc, 0, v4, vcc
	v_mul_lo_u32 v12, s37, v5
	v_mul_lo_u32 v13, s36, v6
	v_mad_u64_u32 v[3:4], s[4:5], s36, v5, 0
	v_add3_u32 v4, v4, v13, v12
	v_sub_u32_e32 v12, v9, v4
	v_mov_b32_e32 v13, s37
	v_sub_co_u32_e32 v3, vcc, v8, v3
	v_subb_co_u32_e64 v8, s[4:5], v12, v13, vcc
	v_subrev_co_u32_e64 v12, s[4:5], s36, v3
	v_subbrev_co_u32_e64 v8, s[4:5], 0, v8, s[4:5]
	v_cmp_le_u32_e64 s[4:5], s37, v8
	v_cndmask_b32_e64 v13, 0, -1, s[4:5]
	v_cmp_le_u32_e64 s[4:5], s36, v12
	v_cndmask_b32_e64 v12, 0, -1, s[4:5]
	v_cmp_eq_u32_e64 s[4:5], s37, v8
	v_cndmask_b32_e64 v8, v13, v12, s[4:5]
	v_add_co_u32_e64 v12, s[4:5], 2, v5
	v_subb_co_u32_e32 v4, vcc, v9, v4, vcc
	v_addc_co_u32_e64 v13, s[4:5], 0, v6, s[4:5]
	v_cmp_le_u32_e32 vcc, s37, v4
	v_add_co_u32_e64 v14, s[4:5], 1, v5
	v_cndmask_b32_e64 v9, 0, -1, vcc
	v_cmp_le_u32_e32 vcc, s36, v3
	v_addc_co_u32_e64 v15, s[4:5], 0, v6, s[4:5]
	v_cndmask_b32_e64 v3, 0, -1, vcc
	v_cmp_eq_u32_e32 vcc, s37, v4
	v_cmp_ne_u32_e64 s[4:5], 0, v8
	v_cndmask_b32_e32 v3, v9, v3, vcc
	v_cmp_ne_u32_e32 vcc, 0, v3
	v_cndmask_b32_e64 v4, v14, v12, s[4:5]
	v_cndmask_b32_e64 v8, v15, v13, s[4:5]
	v_cndmask_b32_e32 v4, v5, v4, vcc
	v_xor_b32_e32 v5, s34, v7
	v_cndmask_b32_e32 v3, v6, v8, vcc
	v_xor_b32_e32 v4, v4, v5
	v_xor_b32_e32 v3, v3, v5
	v_sub_co_u32_e32 v4, vcc, v4, v5
	v_subb_co_u32_e32 v5, vcc, v3, v5, vcc
.LBB8_6:                                ;   in Loop: Header=BB8_4 Depth=1
	s_andn2_saveexec_b64 s[4:5], s[6:7]
	s_cbranch_execz .LBB8_8
; %bb.7:                                ;   in Loop: Header=BB8_4 Depth=1
	v_cvt_f32_u32_e32 v3, s10
	s_sub_i32 s6, 0, s10
	v_rcp_iflag_f32_e32 v3, v3
	v_mul_f32_e32 v3, 0x4f7ffffe, v3
	v_cvt_u32_f32_e32 v3, v3
	v_mul_lo_u32 v4, s6, v3
	v_mul_hi_u32 v4, v3, v4
	v_add_u32_e32 v3, v3, v4
	v_mul_hi_u32 v3, v0, v3
	v_mul_lo_u32 v4, v3, s10
	v_add_u32_e32 v5, 1, v3
	v_sub_u32_e32 v4, v0, v4
	v_subrev_u32_e32 v6, s10, v4
	v_cmp_le_u32_e32 vcc, s10, v4
	v_cndmask_b32_e32 v4, v4, v6, vcc
	v_cndmask_b32_e32 v3, v3, v5, vcc
	v_add_u32_e32 v5, 1, v3
	v_cmp_le_u32_e32 vcc, s10, v4
	v_cndmask_b32_e32 v4, v3, v5, vcc
	v_mov_b32_e32 v5, v2
.LBB8_8:                                ;   in Loop: Header=BB8_4 Depth=1
	s_or_b64 exec, exec, s[4:5]
	v_or_b32_e32 v3, s15, v5
	v_cmp_ne_u64_e32 vcc, 0, v[2:3]
                                        ; implicit-def: $vgpr6_vgpr7
	s_and_saveexec_b64 s[4:5], vcc
	s_xor_b64 s[6:7], exec, s[4:5]
	s_cbranch_execz .LBB8_10
; %bb.9:                                ;   in Loop: Header=BB8_4 Depth=1
	s_ashr_i32 s36, s15, 31
	s_add_u32 s4, s14, s36
	s_mov_b32 s37, s36
	s_addc_u32 s5, s15, s36
	s_xor_b64 s[38:39], s[4:5], s[36:37]
	v_cvt_f32_u32_e32 v3, s38
	v_cvt_f32_u32_e32 v6, s39
	s_sub_u32 s35, 0, s38
	s_subb_u32 s37, 0, s39
	v_mac_f32_e32 v3, 0x4f800000, v6
	v_rcp_f32_e32 v3, v3
	v_mul_f32_e32 v3, 0x5f7ffffc, v3
	v_mul_f32_e32 v6, 0x2f800000, v3
	v_trunc_f32_e32 v6, v6
	v_mac_f32_e32 v3, 0xcf800000, v6
	v_cvt_u32_f32_e32 v6, v6
	v_cvt_u32_f32_e32 v3, v3
	v_readfirstlane_b32 s40, v6
	v_readfirstlane_b32 s4, v3
	s_mul_i32 s5, s35, s40
	s_mul_hi_u32 s42, s35, s4
	s_mul_i32 s41, s37, s4
	s_add_i32 s5, s42, s5
	s_add_i32 s5, s5, s41
	s_mul_i32 s43, s35, s4
	s_mul_i32 s42, s4, s5
	s_mul_hi_u32 s44, s4, s43
	s_mul_hi_u32 s41, s4, s5
	s_add_u32 s42, s44, s42
	s_addc_u32 s41, 0, s41
	s_mul_hi_u32 s45, s40, s43
	s_mul_i32 s43, s40, s43
	s_add_u32 s42, s42, s43
	s_mul_hi_u32 s44, s40, s5
	s_addc_u32 s41, s41, s45
	s_addc_u32 s42, s44, 0
	s_mul_i32 s5, s40, s5
	s_add_u32 s5, s41, s5
	s_addc_u32 s41, 0, s42
	s_add_u32 s42, s4, s5
	s_cselect_b64 s[4:5], -1, 0
	s_cmp_lg_u64 s[4:5], 0
	s_addc_u32 s40, s40, s41
	s_mul_i32 s4, s35, s40
	s_mul_hi_u32 s5, s35, s42
	s_add_i32 s4, s5, s4
	s_mul_i32 s37, s37, s42
	s_add_i32 s4, s4, s37
	s_mul_i32 s35, s35, s42
	s_mul_hi_u32 s37, s40, s35
	s_mul_i32 s41, s40, s35
	s_mul_i32 s44, s42, s4
	s_mul_hi_u32 s35, s42, s35
	s_mul_hi_u32 s43, s42, s4
	s_add_u32 s35, s35, s44
	s_addc_u32 s43, 0, s43
	s_add_u32 s35, s35, s41
	s_mul_hi_u32 s5, s40, s4
	s_addc_u32 s35, s43, s37
	s_addc_u32 s5, s5, 0
	s_mul_i32 s4, s40, s4
	s_add_u32 s4, s35, s4
	s_addc_u32 s35, 0, s5
	s_add_u32 s37, s42, s4
	s_cselect_b64 s[4:5], -1, 0
	v_ashrrev_i32_e32 v3, 31, v5
	s_cmp_lg_u64 s[4:5], 0
	v_add_co_u32_e32 v6, vcc, v4, v3
	s_addc_u32 s35, s40, s35
	v_xor_b32_e32 v12, v6, v3
	v_mad_u64_u32 v[6:7], s[4:5], v12, s35, 0
	v_mul_hi_u32 v9, v12, s37
	v_addc_co_u32_e32 v8, vcc, v5, v3, vcc
	v_xor_b32_e32 v13, v8, v3
	v_add_co_u32_e32 v14, vcc, v9, v6
	v_addc_co_u32_e32 v15, vcc, 0, v7, vcc
	v_mad_u64_u32 v[6:7], s[4:5], v13, s37, 0
	v_mad_u64_u32 v[8:9], s[4:5], v13, s35, 0
	v_add_co_u32_e32 v6, vcc, v14, v6
	v_addc_co_u32_e32 v6, vcc, v15, v7, vcc
	v_addc_co_u32_e32 v7, vcc, 0, v9, vcc
	v_add_co_u32_e32 v8, vcc, v6, v8
	v_addc_co_u32_e32 v9, vcc, 0, v7, vcc
	v_mul_lo_u32 v14, s39, v8
	v_mul_lo_u32 v15, s38, v9
	v_mad_u64_u32 v[6:7], s[4:5], s38, v8, 0
	v_xor_b32_e32 v3, s36, v3
	v_add3_u32 v7, v7, v15, v14
	v_sub_u32_e32 v14, v13, v7
	v_mov_b32_e32 v15, s39
	v_sub_co_u32_e32 v6, vcc, v12, v6
	v_subb_co_u32_e64 v12, s[4:5], v14, v15, vcc
	v_subrev_co_u32_e64 v14, s[4:5], s38, v6
	v_subbrev_co_u32_e64 v12, s[4:5], 0, v12, s[4:5]
	v_cmp_le_u32_e64 s[4:5], s39, v12
	v_cndmask_b32_e64 v15, 0, -1, s[4:5]
	v_cmp_le_u32_e64 s[4:5], s38, v14
	v_cndmask_b32_e64 v14, 0, -1, s[4:5]
	v_cmp_eq_u32_e64 s[4:5], s39, v12
	v_cndmask_b32_e64 v12, v15, v14, s[4:5]
	v_add_co_u32_e64 v14, s[4:5], 2, v8
	v_subb_co_u32_e32 v7, vcc, v13, v7, vcc
	v_addc_co_u32_e64 v15, s[4:5], 0, v9, s[4:5]
	v_cmp_le_u32_e32 vcc, s39, v7
	v_add_co_u32_e64 v16, s[4:5], 1, v8
	v_cndmask_b32_e64 v13, 0, -1, vcc
	v_cmp_le_u32_e32 vcc, s38, v6
	v_addc_co_u32_e64 v17, s[4:5], 0, v9, s[4:5]
	v_cndmask_b32_e64 v6, 0, -1, vcc
	v_cmp_eq_u32_e32 vcc, s39, v7
	v_cmp_ne_u32_e64 s[4:5], 0, v12
	v_cndmask_b32_e32 v6, v13, v6, vcc
	v_cndmask_b32_e64 v12, v17, v15, s[4:5]
	v_cmp_ne_u32_e32 vcc, 0, v6
	v_cndmask_b32_e64 v7, v16, v14, s[4:5]
	v_cndmask_b32_e32 v6, v9, v12, vcc
	v_cndmask_b32_e32 v7, v8, v7, vcc
	v_xor_b32_e32 v8, v6, v3
	v_xor_b32_e32 v6, v7, v3
	v_sub_co_u32_e32 v6, vcc, v6, v3
	v_subb_co_u32_e32 v7, vcc, v8, v3, vcc
.LBB8_10:                               ;   in Loop: Header=BB8_4 Depth=1
	s_andn2_saveexec_b64 s[4:5], s[6:7]
	s_cbranch_execz .LBB8_12
; %bb.11:                               ;   in Loop: Header=BB8_4 Depth=1
	v_cvt_f32_u32_e32 v3, s14
	s_sub_i32 s6, 0, s14
	v_rcp_iflag_f32_e32 v3, v3
	v_mul_f32_e32 v3, 0x4f7ffffe, v3
	v_cvt_u32_f32_e32 v3, v3
	v_mul_lo_u32 v6, s6, v3
	v_mul_hi_u32 v6, v3, v6
	v_add_u32_e32 v3, v3, v6
	v_mul_hi_u32 v3, v4, v3
	v_mul_lo_u32 v6, v3, s14
	v_add_u32_e32 v7, 1, v3
	v_sub_u32_e32 v6, v4, v6
	v_subrev_u32_e32 v8, s14, v6
	v_cmp_le_u32_e32 vcc, s14, v6
	v_cndmask_b32_e32 v6, v6, v8, vcc
	v_cndmask_b32_e32 v3, v3, v7, vcc
	v_add_u32_e32 v7, 1, v3
	v_cmp_le_u32_e32 vcc, s14, v6
	v_cndmask_b32_e32 v6, v3, v7, vcc
	v_mov_b32_e32 v7, v2
.LBB8_12:                               ;   in Loop: Header=BB8_4 Depth=1
	s_or_b64 exec, exec, s[4:5]
	v_or_b32_e32 v3, s13, v7
	v_cmp_ne_u64_e32 vcc, 0, v[2:3]
                                        ; implicit-def: $vgpr8_vgpr9
	s_and_saveexec_b64 s[4:5], vcc
	s_xor_b64 s[6:7], exec, s[4:5]
	s_cbranch_execz .LBB8_14
; %bb.13:                               ;   in Loop: Header=BB8_4 Depth=1
	s_ashr_i32 s36, s13, 31
	s_add_u32 s4, s12, s36
	s_mov_b32 s37, s36
	s_addc_u32 s5, s13, s36
	s_xor_b64 s[38:39], s[4:5], s[36:37]
	v_cvt_f32_u32_e32 v3, s38
	v_cvt_f32_u32_e32 v8, s39
	s_sub_u32 s35, 0, s38
	s_subb_u32 s37, 0, s39
	v_mac_f32_e32 v3, 0x4f800000, v8
	v_rcp_f32_e32 v3, v3
	v_mul_f32_e32 v3, 0x5f7ffffc, v3
	v_mul_f32_e32 v8, 0x2f800000, v3
	v_trunc_f32_e32 v8, v8
	v_mac_f32_e32 v3, 0xcf800000, v8
	v_cvt_u32_f32_e32 v8, v8
	v_cvt_u32_f32_e32 v3, v3
	v_readfirstlane_b32 s40, v8
	v_readfirstlane_b32 s4, v3
	s_mul_i32 s5, s35, s40
	s_mul_hi_u32 s42, s35, s4
	s_mul_i32 s41, s37, s4
	s_add_i32 s5, s42, s5
	s_add_i32 s5, s5, s41
	s_mul_i32 s43, s35, s4
	s_mul_i32 s42, s4, s5
	s_mul_hi_u32 s44, s4, s43
	s_mul_hi_u32 s41, s4, s5
	s_add_u32 s42, s44, s42
	s_addc_u32 s41, 0, s41
	s_mul_hi_u32 s45, s40, s43
	s_mul_i32 s43, s40, s43
	s_add_u32 s42, s42, s43
	s_mul_hi_u32 s44, s40, s5
	s_addc_u32 s41, s41, s45
	s_addc_u32 s42, s44, 0
	s_mul_i32 s5, s40, s5
	s_add_u32 s5, s41, s5
	s_addc_u32 s41, 0, s42
	s_add_u32 s42, s4, s5
	s_cselect_b64 s[4:5], -1, 0
	s_cmp_lg_u64 s[4:5], 0
	s_addc_u32 s40, s40, s41
	s_mul_i32 s4, s35, s40
	s_mul_hi_u32 s5, s35, s42
	s_add_i32 s4, s5, s4
	s_mul_i32 s37, s37, s42
	s_add_i32 s4, s4, s37
	s_mul_i32 s35, s35, s42
	s_mul_hi_u32 s37, s40, s35
	s_mul_i32 s41, s40, s35
	s_mul_i32 s44, s42, s4
	s_mul_hi_u32 s35, s42, s35
	s_mul_hi_u32 s43, s42, s4
	s_add_u32 s35, s35, s44
	s_addc_u32 s43, 0, s43
	s_add_u32 s35, s35, s41
	s_mul_hi_u32 s5, s40, s4
	s_addc_u32 s35, s43, s37
	s_addc_u32 s5, s5, 0
	s_mul_i32 s4, s40, s4
	s_add_u32 s4, s35, s4
	s_addc_u32 s35, 0, s5
	s_add_u32 s37, s42, s4
	s_cselect_b64 s[4:5], -1, 0
	v_ashrrev_i32_e32 v3, 31, v7
	s_cmp_lg_u64 s[4:5], 0
	v_add_co_u32_e32 v8, vcc, v6, v3
	s_addc_u32 s35, s40, s35
	v_xor_b32_e32 v14, v8, v3
	v_addc_co_u32_e32 v9, vcc, v7, v3, vcc
	v_mad_u64_u32 v[7:8], s[4:5], v14, s35, 0
	v_mul_hi_u32 v12, v14, s37
	v_xor_b32_e32 v9, v9, v3
	v_xor_b32_e32 v3, s36, v3
	v_add_co_u32_e32 v15, vcc, v12, v7
	v_addc_co_u32_e32 v16, vcc, 0, v8, vcc
	v_mad_u64_u32 v[7:8], s[4:5], v9, s37, 0
	v_mad_u64_u32 v[12:13], s[4:5], v9, s35, 0
	v_add_co_u32_e32 v7, vcc, v15, v7
	v_addc_co_u32_e32 v7, vcc, v16, v8, vcc
	v_addc_co_u32_e32 v8, vcc, 0, v13, vcc
	v_add_co_u32_e32 v12, vcc, v7, v12
	v_addc_co_u32_e32 v13, vcc, 0, v8, vcc
	v_mul_lo_u32 v15, s39, v12
	v_mul_lo_u32 v16, s38, v13
	v_mad_u64_u32 v[7:8], s[4:5], s38, v12, 0
	v_add3_u32 v8, v8, v16, v15
	v_sub_u32_e32 v15, v9, v8
	v_mov_b32_e32 v16, s39
	v_sub_co_u32_e32 v7, vcc, v14, v7
	v_subb_co_u32_e64 v14, s[4:5], v15, v16, vcc
	v_subrev_co_u32_e64 v15, s[4:5], s38, v7
	v_subbrev_co_u32_e64 v14, s[4:5], 0, v14, s[4:5]
	v_cmp_le_u32_e64 s[4:5], s39, v14
	v_cndmask_b32_e64 v16, 0, -1, s[4:5]
	v_cmp_le_u32_e64 s[4:5], s38, v15
	v_cndmask_b32_e64 v15, 0, -1, s[4:5]
	v_cmp_eq_u32_e64 s[4:5], s39, v14
	v_cndmask_b32_e64 v14, v16, v15, s[4:5]
	v_add_co_u32_e64 v15, s[4:5], 2, v12
	v_subb_co_u32_e32 v8, vcc, v9, v8, vcc
	v_addc_co_u32_e64 v16, s[4:5], 0, v13, s[4:5]
	v_cmp_le_u32_e32 vcc, s39, v8
	v_add_co_u32_e64 v17, s[4:5], 1, v12
	v_cndmask_b32_e64 v9, 0, -1, vcc
	v_cmp_le_u32_e32 vcc, s38, v7
	v_addc_co_u32_e64 v18, s[4:5], 0, v13, s[4:5]
	v_cndmask_b32_e64 v7, 0, -1, vcc
	v_cmp_eq_u32_e32 vcc, s39, v8
	v_cmp_ne_u32_e64 s[4:5], 0, v14
	v_cndmask_b32_e32 v7, v9, v7, vcc
	v_cmp_ne_u32_e32 vcc, 0, v7
	v_cndmask_b32_e64 v8, v17, v15, s[4:5]
	v_cndmask_b32_e64 v14, v18, v16, s[4:5]
	v_cndmask_b32_e32 v8, v12, v8, vcc
	v_cndmask_b32_e32 v7, v13, v14, vcc
	v_xor_b32_e32 v8, v8, v3
	v_xor_b32_e32 v7, v7, v3
	v_sub_co_u32_e32 v8, vcc, v8, v3
	v_subb_co_u32_e32 v9, vcc, v7, v3, vcc
.LBB8_14:                               ;   in Loop: Header=BB8_4 Depth=1
	s_andn2_saveexec_b64 s[4:5], s[6:7]
	s_cbranch_execz .LBB8_16
; %bb.15:                               ;   in Loop: Header=BB8_4 Depth=1
	v_cvt_f32_u32_e32 v3, s12
	s_sub_i32 s6, 0, s12
	v_rcp_iflag_f32_e32 v3, v3
	v_mul_f32_e32 v3, 0x4f7ffffe, v3
	v_cvt_u32_f32_e32 v3, v3
	v_mul_lo_u32 v7, s6, v3
	v_mul_hi_u32 v7, v3, v7
	v_add_u32_e32 v3, v3, v7
	v_mul_hi_u32 v3, v6, v3
	v_mul_lo_u32 v7, v3, s12
	v_add_u32_e32 v8, 1, v3
	v_sub_u32_e32 v7, v6, v7
	v_subrev_u32_e32 v9, s12, v7
	v_cmp_le_u32_e32 vcc, s12, v7
	v_cndmask_b32_e32 v7, v7, v9, vcc
	v_cndmask_b32_e32 v3, v3, v8, vcc
	v_add_u32_e32 v8, 1, v3
	v_cmp_le_u32_e32 vcc, s12, v7
	v_cndmask_b32_e32 v8, v3, v8, vcc
	v_mov_b32_e32 v9, v2
.LBB8_16:                               ;   in Loop: Header=BB8_4 Depth=1
	s_or_b64 exec, exec, s[4:5]
	v_mul_lo_u32 v7, v8, s12
	v_mov_b32_e32 v3, 0
	v_mov_b32_e32 v12, 0
	v_sub_u32_e32 v7, v6, v7
	v_cmp_le_i32_e32 vcc, s18, v7
	s_and_saveexec_b64 s[4:5], vcc
	s_cbranch_execz .LBB8_18
; %bb.17:                               ;   in Loop: Header=BB8_4 Depth=1
	v_subrev_u32_e32 v12, s18, v7
	v_mul_hi_u32 v13, v12, v10
	v_mul_lo_u32 v14, v13, s27
	v_add_u32_e32 v15, 1, v13
	v_sub_u32_e32 v12, v12, v14
	v_cmp_le_u32_e32 vcc, s27, v12
	v_subrev_u32_e32 v14, s27, v12
	v_cndmask_b32_e32 v13, v13, v15, vcc
	v_cndmask_b32_e32 v12, v12, v14, vcc
	v_add_u32_e32 v14, 1, v13
	v_cmp_le_u32_e32 vcc, s27, v12
	v_cndmask_b32_e32 v12, v13, v14, vcc
	v_xor_b32_e32 v12, s51, v12
	v_subrev_u32_e32 v12, s51, v12
	v_add_u32_e32 v12, 1, v12
.LBB8_18:                               ;   in Loop: Header=BB8_4 Depth=1
	s_or_b64 exec, exec, s[4:5]
	v_mul_lo_u32 v6, v6, s14
	v_sub_u32_e32 v14, v4, v6
	v_cmp_le_i32_e32 vcc, s19, v14
	s_and_saveexec_b64 s[4:5], vcc
	s_cbranch_execz .LBB8_20
; %bb.19:                               ;   in Loop: Header=BB8_4 Depth=1
	v_subrev_u32_e32 v3, s19, v14
	v_mul_hi_u32 v6, v3, v11
	v_mul_lo_u32 v13, v6, s33
	v_add_u32_e32 v15, 1, v6
	v_sub_u32_e32 v3, v3, v13
	v_cmp_le_u32_e32 vcc, s33, v3
	v_subrev_u32_e32 v13, s33, v3
	v_cndmask_b32_e32 v6, v6, v15, vcc
	v_cndmask_b32_e32 v3, v3, v13, vcc
	v_add_u32_e32 v13, 1, v6
	v_cmp_le_u32_e32 vcc, s33, v3
	v_cndmask_b32_e32 v3, v6, v13, vcc
	v_xor_b32_e32 v3, s52, v3
	v_subrev_u32_e32 v3, s52, v3
	v_add_u32_e32 v3, 1, v3
.LBB8_20:                               ;   in Loop: Header=BB8_4 Depth=1
	s_or_b64 exec, exec, s[4:5]
	v_sub_u32_e32 v6, 0, v7
	v_max_i32_e32 v6, v7, v6
	v_mul_hi_u32 v13, v6, v10
	v_ashrrev_i32_e32 v7, 31, v7
	v_xor_b32_e32 v7, s51, v7
	v_mul_lo_u32 v15, v13, s27
	v_add_u32_e32 v16, 1, v13
	v_sub_u32_e32 v6, v6, v15
	v_cmp_le_u32_e32 vcc, s27, v6
	v_subrev_u32_e32 v15, s27, v6
	v_cndmask_b32_e32 v13, v13, v16, vcc
	v_cndmask_b32_e32 v6, v6, v15, vcc
	v_add_u32_e32 v15, 1, v13
	v_cmp_le_u32_e32 vcc, s27, v6
	v_cndmask_b32_e32 v6, v13, v15, vcc
	v_xor_b32_e32 v6, v6, v7
	v_sub_u32_e32 v6, v6, v7
	v_add_u32_e32 v6, 1, v6
	v_min_i32_e32 v13, s16, v6
	v_mov_b32_e32 v6, 0
	v_mov_b32_e32 v7, 0
	v_cmp_lt_i32_e32 vcc, v12, v13
	s_and_saveexec_b64 s[36:37], vcc
	s_cbranch_execz .LBB8_3
; %bb.21:                               ;   in Loop: Header=BB8_4 Depth=1
	v_sub_u32_e32 v15, 0, v14
	v_max_i32_e32 v15, v14, v15
	v_mul_lo_u32 v6, v5, s10
	v_mul_lo_u32 v7, v4, s11
	v_mad_u64_u32 v[4:5], s[4:5], v4, s10, 0
	v_mul_hi_u32 v16, v15, v11
	v_mul_lo_u32 v9, s47, v9
	v_add3_u32 v6, v5, v7, v6
	v_sub_co_u32_e32 v5, vcc, v0, v4
	v_mul_lo_u32 v7, v16, s33
	v_subb_co_u32_e32 v6, vcc, v1, v6, vcc
	v_ashrrev_i32_e32 v4, 31, v14
	v_sub_u32_e32 v7, v15, v7
	v_add_u32_e32 v14, 1, v16
	v_cmp_le_u32_e32 vcc, s33, v7
	v_subrev_u32_e32 v15, s33, v7
	v_cndmask_b32_e32 v14, v16, v14, vcc
	v_cndmask_b32_e32 v7, v7, v15, vcc
	v_add_u32_e32 v15, 1, v14
	v_cmp_le_u32_e32 vcc, s33, v7
	v_xor_b32_e32 v4, s52, v4
	v_cndmask_b32_e32 v7, v14, v15, vcc
	v_xor_b32_e32 v14, v7, v4
	v_mul_lo_u32 v15, s46, v8
	v_mad_u64_u32 v[7:8], s[4:5], s47, v8, 0
	v_lshlrev_b64 v[5:6], 3, v[5:6]
	v_mul_lo_u32 v16, s21, v3
	v_add3_u32 v8, v8, v9, v15
	v_lshlrev_b64 v[7:8], 3, v[7:8]
	v_mov_b32_e32 v9, s9
	v_add_co_u32_e32 v7, vcc, s8, v7
	v_sub_u32_e32 v4, v14, v4
	v_addc_co_u32_e32 v8, vcc, v9, v8, vcc
	v_mul_lo_u32 v9, s17, v12
	v_add_u32_e32 v4, 1, v4
	v_add_co_u32_e32 v5, vcc, v7, v5
	v_min_i32_e32 v4, s17, v4
	v_addc_co_u32_e32 v8, vcc, v8, v6, vcc
	v_mov_b32_e32 v6, 0
	v_cmp_lt_i32_e64 s[4:5], v3, v4
	v_add_u32_e32 v14, s53, v16
	v_add_u32_e32 v15, s54, v16
	v_sub_u32_e32 v16, s23, v16
	v_mov_b32_e32 v7, 0
	s_mov_b64 s[38:39], 0
	s_branch .LBB8_24
.LBB8_22:                               ;   in Loop: Header=BB8_24 Depth=2
	s_or_b64 exec, exec, s[42:43]
.LBB8_23:                               ;   in Loop: Header=BB8_24 Depth=2
	s_or_b64 exec, exec, s[40:41]
	v_add_u32_e32 v12, 1, v12
	v_cmp_ge_i32_e32 vcc, v12, v13
	s_or_b64 s[38:39], vcc, s[38:39]
	v_add_u32_e32 v9, s17, v9
	s_andn2_b64 exec, exec, s[38:39]
	s_cbranch_execz .LBB8_2
.LBB8_24:                               ;   Parent Loop BB8_4 Depth=1
                                        ; =>  This Loop Header: Depth=2
                                        ;       Child Loop BB8_27 Depth 3
	s_and_saveexec_b64 s[40:41], s[4:5]
	s_cbranch_execz .LBB8_23
; %bb.25:                               ;   in Loop: Header=BB8_24 Depth=2
	v_mul_lo_u32 v17, v12, s20
	s_mov_b64 s[42:43], 0
	v_mov_b32_e32 v21, v14
	v_mov_b32_e32 v22, v3
	v_subrev_u32_e32 v17, s22, v17
	v_add_u32_e32 v18, s18, v17
	v_min_i32_e32 v18, s48, v18
	v_max_i32_e32 v19, 0, v17
	v_min_i32_e32 v20, s12, v18
	v_sub_u32_e32 v17, v18, v17
	v_cmp_gt_i32_e64 s[6:7], v20, v19
	v_sub_u32_e32 v18, v20, v19
	v_mov_b32_e32 v19, v16
	v_mov_b32_e32 v20, v15
	s_branch .LBB8_27
.LBB8_26:                               ;   in Loop: Header=BB8_27 Depth=3
	s_or_b64 exec, exec, s[44:45]
	v_add_u32_e32 v22, 1, v22
	v_cmp_ge_i32_e32 vcc, v22, v4
	v_add_u32_e32 v21, s21, v21
	v_add_u32_e32 v20, s21, v20
	s_or_b64 s[42:43], vcc, s[42:43]
	v_subrev_u32_e32 v19, s21, v19
	s_andn2_b64 exec, exec, s[42:43]
	s_cbranch_execz .LBB8_22
.LBB8_27:                               ;   Parent Loop BB8_4 Depth=1
                                        ;     Parent Loop BB8_24 Depth=2
                                        ; =>    This Inner Loop Header: Depth=3
	v_add_u32_e32 v24, s19, v21
	v_mov_b32_e32 v25, s14
	v_max_i32_e32 v23, 0, v21
	v_min3_i32 v24, v24, s49, v25
	v_cmp_gt_i32_e32 vcc, v24, v23
	s_and_b64 s[56:57], s[6:7], vcc
	s_and_saveexec_b64 s[44:45], s[56:57]
	s_cbranch_execz .LBB8_26
; %bb.28:                               ;   in Loop: Header=BB8_27 Depth=3
	v_add_u32_e32 v25, v9, v22
	v_ashrrev_i32_e32 v27, 31, v25
	v_mul_lo_u32 v28, s11, v25
	v_mad_u64_u32 v[25:26], s[56:57], s10, v25, 0
	v_mul_lo_u32 v27, s10, v27
	v_sub_u32_e32 v23, v24, v23
	v_mul_lo_u32 v23, v23, v18
	v_add3_u32 v26, v26, v27, v28
	v_lshlrev_b64 v[25:26], 3, v[25:26]
	v_min_i32_e32 v27, s49, v20
	v_add_co_u32_e32 v25, vcc, v5, v25
	v_addc_co_u32_e32 v26, vcc, v8, v26, vcc
	global_load_dwordx2 v[25:26], v[25:26], off
	v_add_u32_e32 v24, v27, v19
	v_mul_lo_u32 v24, v24, v17
	v_mov_b32_e32 v27, s26
	v_cndmask_b32_e64 v23, v23, v24, s[0:1]
	v_cndmask_b32_e64 v23, v23, v27, s[2:3]
	v_cvt_f64_i32_e32 v[23:24], v23
	s_waitcnt vmcnt(0)
	v_div_scale_f64 v[27:28], s[56:57], v[23:24], v[23:24], v[25:26]
	v_div_scale_f64 v[33:34], vcc, v[25:26], v[23:24], v[25:26]
	v_rcp_f64_e32 v[29:30], v[27:28]
	v_fma_f64 v[31:32], -v[27:28], v[29:30], 1.0
	v_fma_f64 v[29:30], v[29:30], v[31:32], v[29:30]
	v_fma_f64 v[31:32], -v[27:28], v[29:30], 1.0
	v_fma_f64 v[29:30], v[29:30], v[31:32], v[29:30]
	v_mul_f64 v[31:32], v[33:34], v[29:30]
	v_fma_f64 v[27:28], -v[27:28], v[31:32], v[33:34]
	v_div_fmas_f64 v[27:28], v[27:28], v[29:30], v[31:32]
	v_div_fixup_f64 v[23:24], v[27:28], v[23:24], v[25:26]
	v_add_f64 v[6:7], v[6:7], v[23:24]
	s_branch .LBB8_26
.LBB8_29:
	s_endpgm
	.section	.rodata,"a",@progbits
	.p2align	6, 0x0
	.amdhsa_kernel _ZN2at6native12_GLOBAL__N_139avg_pool2d_backward_out_cuda_frame_nhwcIddiEEvT1_PKT_llliiiiiiiiPS4_ibb
		.amdhsa_group_segment_fixed_size 0
		.amdhsa_private_segment_fixed_size 0
		.amdhsa_kernarg_size 344
		.amdhsa_user_sgpr_count 6
		.amdhsa_user_sgpr_private_segment_buffer 1
		.amdhsa_user_sgpr_dispatch_ptr 0
		.amdhsa_user_sgpr_queue_ptr 0
		.amdhsa_user_sgpr_kernarg_segment_ptr 1
		.amdhsa_user_sgpr_dispatch_id 0
		.amdhsa_user_sgpr_flat_scratch_init 0
		.amdhsa_user_sgpr_private_segment_size 0
		.amdhsa_uses_dynamic_stack 0
		.amdhsa_system_sgpr_private_segment_wavefront_offset 0
		.amdhsa_system_sgpr_workgroup_id_x 1
		.amdhsa_system_sgpr_workgroup_id_y 0
		.amdhsa_system_sgpr_workgroup_id_z 0
		.amdhsa_system_sgpr_workgroup_info 0
		.amdhsa_system_vgpr_workitem_id 0
		.amdhsa_next_free_vgpr 35
		.amdhsa_next_free_sgpr 58
		.amdhsa_reserve_vcc 1
		.amdhsa_reserve_flat_scratch 0
		.amdhsa_float_round_mode_32 0
		.amdhsa_float_round_mode_16_64 0
		.amdhsa_float_denorm_mode_32 3
		.amdhsa_float_denorm_mode_16_64 3
		.amdhsa_dx10_clamp 1
		.amdhsa_ieee_mode 1
		.amdhsa_fp16_overflow 0
		.amdhsa_exception_fp_ieee_invalid_op 0
		.amdhsa_exception_fp_denorm_src 0
		.amdhsa_exception_fp_ieee_div_zero 0
		.amdhsa_exception_fp_ieee_overflow 0
		.amdhsa_exception_fp_ieee_underflow 0
		.amdhsa_exception_fp_ieee_inexact 0
		.amdhsa_exception_int_div_zero 0
	.end_amdhsa_kernel
	.section	.text._ZN2at6native12_GLOBAL__N_139avg_pool2d_backward_out_cuda_frame_nhwcIddiEEvT1_PKT_llliiiiiiiiPS4_ibb,"axG",@progbits,_ZN2at6native12_GLOBAL__N_139avg_pool2d_backward_out_cuda_frame_nhwcIddiEEvT1_PKT_llliiiiiiiiPS4_ibb,comdat
.Lfunc_end8:
	.size	_ZN2at6native12_GLOBAL__N_139avg_pool2d_backward_out_cuda_frame_nhwcIddiEEvT1_PKT_llliiiiiiiiPS4_ibb, .Lfunc_end8-_ZN2at6native12_GLOBAL__N_139avg_pool2d_backward_out_cuda_frame_nhwcIddiEEvT1_PKT_llliiiiiiiiPS4_ibb
                                        ; -- End function
	.set _ZN2at6native12_GLOBAL__N_139avg_pool2d_backward_out_cuda_frame_nhwcIddiEEvT1_PKT_llliiiiiiiiPS4_ibb.num_vgpr, 35
	.set _ZN2at6native12_GLOBAL__N_139avg_pool2d_backward_out_cuda_frame_nhwcIddiEEvT1_PKT_llliiiiiiiiPS4_ibb.num_agpr, 0
	.set _ZN2at6native12_GLOBAL__N_139avg_pool2d_backward_out_cuda_frame_nhwcIddiEEvT1_PKT_llliiiiiiiiPS4_ibb.numbered_sgpr, 58
	.set _ZN2at6native12_GLOBAL__N_139avg_pool2d_backward_out_cuda_frame_nhwcIddiEEvT1_PKT_llliiiiiiiiPS4_ibb.num_named_barrier, 0
	.set _ZN2at6native12_GLOBAL__N_139avg_pool2d_backward_out_cuda_frame_nhwcIddiEEvT1_PKT_llliiiiiiiiPS4_ibb.private_seg_size, 0
	.set _ZN2at6native12_GLOBAL__N_139avg_pool2d_backward_out_cuda_frame_nhwcIddiEEvT1_PKT_llliiiiiiiiPS4_ibb.uses_vcc, 1
	.set _ZN2at6native12_GLOBAL__N_139avg_pool2d_backward_out_cuda_frame_nhwcIddiEEvT1_PKT_llliiiiiiiiPS4_ibb.uses_flat_scratch, 0
	.set _ZN2at6native12_GLOBAL__N_139avg_pool2d_backward_out_cuda_frame_nhwcIddiEEvT1_PKT_llliiiiiiiiPS4_ibb.has_dyn_sized_stack, 0
	.set _ZN2at6native12_GLOBAL__N_139avg_pool2d_backward_out_cuda_frame_nhwcIddiEEvT1_PKT_llliiiiiiiiPS4_ibb.has_recursion, 0
	.set _ZN2at6native12_GLOBAL__N_139avg_pool2d_backward_out_cuda_frame_nhwcIddiEEvT1_PKT_llliiiiiiiiPS4_ibb.has_indirect_call, 0
	.section	.AMDGPU.csdata,"",@progbits
; Kernel info:
; codeLenInByte = 3552
; TotalNumSgprs: 62
; NumVgprs: 35
; ScratchSize: 0
; MemoryBound: 0
; FloatMode: 240
; IeeeMode: 1
; LDSByteSize: 0 bytes/workgroup (compile time only)
; SGPRBlocks: 7
; VGPRBlocks: 8
; NumSGPRsForWavesPerEU: 62
; NumVGPRsForWavesPerEU: 35
; Occupancy: 7
; WaveLimiterHint : 0
; COMPUTE_PGM_RSRC2:SCRATCH_EN: 0
; COMPUTE_PGM_RSRC2:USER_SGPR: 6
; COMPUTE_PGM_RSRC2:TRAP_HANDLER: 0
; COMPUTE_PGM_RSRC2:TGID_X_EN: 1
; COMPUTE_PGM_RSRC2:TGID_Y_EN: 0
; COMPUTE_PGM_RSRC2:TGID_Z_EN: 0
; COMPUTE_PGM_RSRC2:TIDIG_COMP_CNT: 0
	.section	.text._ZN2at6native12_GLOBAL__N_134avg_pool2d_backward_out_cuda_frameIddiEEvT1_PKT_llllliiiiiiPS4_ibb,"axG",@progbits,_ZN2at6native12_GLOBAL__N_134avg_pool2d_backward_out_cuda_frameIddiEEvT1_PKT_llllliiiiiiPS4_ibb,comdat
	.globl	_ZN2at6native12_GLOBAL__N_134avg_pool2d_backward_out_cuda_frameIddiEEvT1_PKT_llllliiiiiiPS4_ibb ; -- Begin function _ZN2at6native12_GLOBAL__N_134avg_pool2d_backward_out_cuda_frameIddiEEvT1_PKT_llllliiiiiiPS4_ibb
	.p2align	8
	.type	_ZN2at6native12_GLOBAL__N_134avg_pool2d_backward_out_cuda_frameIddiEEvT1_PKT_llllliiiiiiPS4_ibb,@function
_ZN2at6native12_GLOBAL__N_134avg_pool2d_backward_out_cuda_frameIddiEEvT1_PKT_llllliiiiiiPS4_ibb: ; @_ZN2at6native12_GLOBAL__N_134avg_pool2d_backward_out_cuda_frameIddiEEvT1_PKT_llllliiiiiiPS4_ibb
; %bb.0:
	s_load_dword s24, s[4:5], 0x0
	s_load_dword s0, s[4:5], 0x6c
	v_mov_b32_e32 v2, 0
	v_mov_b32_e32 v1, v2
	;; [unrolled: 1-line block ×3, first 2 shown]
	s_waitcnt lgkmcnt(0)
	s_ashr_i32 s25, s24, 31
	s_add_u32 s30, s4, 0x60
	s_addc_u32 s31, s5, 0
	s_and_b32 s7, s0, 0xffff
	v_mad_u64_u32 v[0:1], s[0:1], s7, v3, v[0:1]
	v_cmp_gt_i64_e32 vcc, s[24:25], v[0:1]
	s_and_saveexec_b64 s[0:1], vcc
	s_cbranch_execz .LBB9_25
; %bb.1:
	s_load_dwordx2 s[26:27], s[4:5], 0x58
	s_load_dword s2, s[4:5], 0x5c
	s_load_dwordx8 s[8:15], s[4:5], 0x18
	s_load_dwordx8 s[16:23], s[4:5], 0x38
	s_load_dwordx2 s[28:29], s[4:5], 0x8
	s_waitcnt lgkmcnt(0)
	s_bitcmp1_b32 s27, 0
	s_cselect_b64 s[0:1], -1, 0
	s_bitcmp1_b32 s2, 8
	s_cselect_b64 s[2:3], -1, 0
	s_abs_i32 s27, s18
	v_cvt_f32_u32_e32 v3, s27
	s_abs_i32 s33, s19
	v_cvt_f32_u32_e32 v4, s33
	s_sub_i32 s5, 0, s27
	v_rcp_iflag_f32_e32 v3, v3
	s_load_dword s4, s[30:31], 0x0
	v_rcp_iflag_f32_e32 v4, v4
	s_add_i32 s50, s20, s8
	v_mul_f32_e32 v3, 0x4f7ffffe, v3
	v_cvt_u32_f32_e32 v3, v3
	v_mul_f32_e32 v4, 0x4f7ffffe, v4
	v_cvt_u32_f32_e32 v4, v4
	s_add_i32 s51, s21, s10
	v_mul_lo_u32 v5, s5, v3
	s_sub_i32 s5, 0, s33
	v_mul_lo_u32 v6, s5, v4
	s_waitcnt lgkmcnt(0)
	s_mul_i32 s52, s4, s7
	v_mul_hi_u32 v5, v3, v5
	s_ashr_i32 s53, s18, 31
	v_mul_hi_u32 v6, v4, v6
	s_ashr_i32 s54, s19, 31
	v_add_u32_e32 v12, v3, v5
	s_lshl_b64 s[30:31], s[12:13], 3
	v_add_u32_e32 v13, v4, v6
	s_lshl_b64 s[34:35], s[14:15], 3
	s_sub_i32 s13, 0, s21
	s_sub_i32 s55, s17, s21
	s_mov_b64 s[36:37], 0
	s_ashr_i32 s38, s11, 31
	s_branch .LBB9_4
.LBB9_2:                                ;   in Loop: Header=BB9_4 Depth=1
	s_or_b64 exec, exec, s[42:43]
.LBB9_3:                                ;   in Loop: Header=BB9_4 Depth=1
	s_or_b64 exec, exec, s[40:41]
	v_lshlrev_b64 v[3:4], 3, v[0:1]
	v_add_co_u32_e32 v0, vcc, s52, v0
	v_addc_co_u32_e32 v1, vcc, 0, v1, vcc
	v_cmp_le_i64_e32 vcc, s[24:25], v[0:1]
	v_mov_b32_e32 v5, s23
	v_add_co_u32_e64 v3, s[4:5], s22, v3
	v_addc_co_u32_e64 v4, s[4:5], v5, v4, s[4:5]
	s_or_b64 s[36:37], vcc, s[36:37]
	global_store_dwordx2 v[3:4], v[6:7], off
	s_andn2_b64 exec, exec, s[36:37]
	s_cbranch_execz .LBB9_25
.LBB9_4:                                ; =>This Loop Header: Depth=1
                                        ;     Child Loop BB9_20 Depth 2
                                        ;       Child Loop BB9_23 Depth 3
	v_or_b32_e32 v3, s11, v1
	v_cmp_ne_u64_e32 vcc, 0, v[2:3]
                                        ; implicit-def: $vgpr4_vgpr5
	s_and_saveexec_b64 s[4:5], vcc
	s_xor_b64 s[6:7], exec, s[4:5]
	s_cbranch_execz .LBB9_6
; %bb.5:                                ;   in Loop: Header=BB9_4 Depth=1
	s_add_u32 s4, s10, s38
	s_mov_b32 s39, s38
	s_addc_u32 s5, s11, s38
	s_xor_b64 s[40:41], s[4:5], s[38:39]
	v_cvt_f32_u32_e32 v3, s40
	v_cvt_f32_u32_e32 v4, s41
	s_sub_u32 s39, 0, s40
	s_subb_u32 s42, 0, s41
	v_ashrrev_i32_e32 v7, 31, v1
	v_mac_f32_e32 v3, 0x4f800000, v4
	v_rcp_f32_e32 v3, v3
	v_mul_f32_e32 v3, 0x5f7ffffc, v3
	v_mul_f32_e32 v4, 0x2f800000, v3
	v_trunc_f32_e32 v4, v4
	v_mac_f32_e32 v3, 0xcf800000, v4
	v_cvt_u32_f32_e32 v4, v4
	v_cvt_u32_f32_e32 v3, v3
	v_readfirstlane_b32 s43, v4
	v_readfirstlane_b32 s4, v3
	s_mul_i32 s5, s39, s43
	s_mul_hi_u32 s45, s39, s4
	s_mul_i32 s44, s42, s4
	s_add_i32 s5, s45, s5
	s_add_i32 s5, s5, s44
	s_mul_i32 s46, s39, s4
	s_mul_i32 s45, s4, s5
	s_mul_hi_u32 s47, s4, s46
	s_mul_hi_u32 s44, s4, s5
	s_add_u32 s45, s47, s45
	s_addc_u32 s44, 0, s44
	s_mul_hi_u32 s48, s43, s46
	s_mul_i32 s46, s43, s46
	s_add_u32 s45, s45, s46
	s_mul_hi_u32 s47, s43, s5
	s_addc_u32 s44, s44, s48
	s_addc_u32 s45, s47, 0
	s_mul_i32 s5, s43, s5
	s_add_u32 s5, s44, s5
	s_addc_u32 s44, 0, s45
	s_add_u32 s45, s4, s5
	s_cselect_b64 s[4:5], -1, 0
	s_cmp_lg_u64 s[4:5], 0
	s_addc_u32 s43, s43, s44
	s_mul_i32 s4, s39, s43
	s_mul_hi_u32 s5, s39, s45
	s_add_i32 s4, s5, s4
	s_mul_i32 s42, s42, s45
	s_add_i32 s4, s4, s42
	s_mul_i32 s39, s39, s45
	s_mul_hi_u32 s42, s43, s39
	s_mul_i32 s44, s43, s39
	s_mul_i32 s47, s45, s4
	s_mul_hi_u32 s39, s45, s39
	s_mul_hi_u32 s46, s45, s4
	s_add_u32 s39, s39, s47
	s_addc_u32 s46, 0, s46
	s_add_u32 s39, s39, s44
	s_mul_hi_u32 s5, s43, s4
	s_addc_u32 s39, s46, s42
	s_addc_u32 s5, s5, 0
	s_mul_i32 s4, s43, s4
	s_add_u32 s4, s39, s4
	s_addc_u32 s39, 0, s5
	s_add_u32 s42, s45, s4
	s_cselect_b64 s[4:5], -1, 0
	s_cmp_lg_u64 s[4:5], 0
	v_add_co_u32_e32 v3, vcc, v0, v7
	s_addc_u32 s39, s43, s39
	v_xor_b32_e32 v8, v3, v7
	v_mad_u64_u32 v[3:4], s[4:5], v8, s39, 0
	v_mul_hi_u32 v6, v8, s42
	v_addc_co_u32_e32 v5, vcc, v1, v7, vcc
	v_xor_b32_e32 v9, v5, v7
	v_add_co_u32_e32 v10, vcc, v6, v3
	v_addc_co_u32_e32 v11, vcc, 0, v4, vcc
	v_mad_u64_u32 v[3:4], s[4:5], v9, s42, 0
	v_mad_u64_u32 v[5:6], s[4:5], v9, s39, 0
	v_add_co_u32_e32 v3, vcc, v10, v3
	v_addc_co_u32_e32 v3, vcc, v11, v4, vcc
	v_addc_co_u32_e32 v4, vcc, 0, v6, vcc
	v_add_co_u32_e32 v5, vcc, v3, v5
	v_addc_co_u32_e32 v6, vcc, 0, v4, vcc
	v_mul_lo_u32 v10, s41, v5
	v_mul_lo_u32 v11, s40, v6
	v_mad_u64_u32 v[3:4], s[4:5], s40, v5, 0
	v_add3_u32 v4, v4, v11, v10
	v_sub_u32_e32 v10, v9, v4
	v_mov_b32_e32 v11, s41
	v_sub_co_u32_e32 v3, vcc, v8, v3
	v_subb_co_u32_e64 v8, s[4:5], v10, v11, vcc
	v_subrev_co_u32_e64 v10, s[4:5], s40, v3
	v_subbrev_co_u32_e64 v8, s[4:5], 0, v8, s[4:5]
	v_cmp_le_u32_e64 s[4:5], s41, v8
	v_cndmask_b32_e64 v11, 0, -1, s[4:5]
	v_cmp_le_u32_e64 s[4:5], s40, v10
	v_cndmask_b32_e64 v10, 0, -1, s[4:5]
	v_cmp_eq_u32_e64 s[4:5], s41, v8
	v_cndmask_b32_e64 v8, v11, v10, s[4:5]
	v_add_co_u32_e64 v10, s[4:5], 2, v5
	v_subb_co_u32_e32 v4, vcc, v9, v4, vcc
	v_addc_co_u32_e64 v11, s[4:5], 0, v6, s[4:5]
	v_cmp_le_u32_e32 vcc, s41, v4
	v_add_co_u32_e64 v14, s[4:5], 1, v5
	v_cndmask_b32_e64 v9, 0, -1, vcc
	v_cmp_le_u32_e32 vcc, s40, v3
	v_addc_co_u32_e64 v15, s[4:5], 0, v6, s[4:5]
	v_cndmask_b32_e64 v3, 0, -1, vcc
	v_cmp_eq_u32_e32 vcc, s41, v4
	v_cmp_ne_u32_e64 s[4:5], 0, v8
	v_cndmask_b32_e32 v3, v9, v3, vcc
	v_cmp_ne_u32_e32 vcc, 0, v3
	v_cndmask_b32_e64 v4, v14, v10, s[4:5]
	v_cndmask_b32_e64 v8, v15, v11, s[4:5]
	v_cndmask_b32_e32 v4, v5, v4, vcc
	v_xor_b32_e32 v5, s38, v7
	v_cndmask_b32_e32 v3, v6, v8, vcc
	v_xor_b32_e32 v4, v4, v5
	v_xor_b32_e32 v3, v3, v5
	v_sub_co_u32_e32 v4, vcc, v4, v5
	v_subb_co_u32_e32 v5, vcc, v3, v5, vcc
.LBB9_6:                                ;   in Loop: Header=BB9_4 Depth=1
	s_andn2_saveexec_b64 s[4:5], s[6:7]
	s_cbranch_execz .LBB9_8
; %bb.7:                                ;   in Loop: Header=BB9_4 Depth=1
	v_cvt_f32_u32_e32 v3, s10
	s_sub_i32 s6, 0, s10
	v_rcp_iflag_f32_e32 v3, v3
	v_mul_f32_e32 v3, 0x4f7ffffe, v3
	v_cvt_u32_f32_e32 v3, v3
	v_mul_lo_u32 v4, s6, v3
	v_mul_hi_u32 v4, v3, v4
	v_add_u32_e32 v3, v3, v4
	v_mul_hi_u32 v3, v0, v3
	v_mul_lo_u32 v4, v3, s10
	v_add_u32_e32 v5, 1, v3
	v_sub_u32_e32 v4, v0, v4
	v_subrev_u32_e32 v6, s10, v4
	v_cmp_le_u32_e32 vcc, s10, v4
	v_cndmask_b32_e32 v4, v4, v6, vcc
	v_cndmask_b32_e32 v3, v3, v5, vcc
	v_add_u32_e32 v5, 1, v3
	v_cmp_le_u32_e32 vcc, s10, v4
	v_cndmask_b32_e32 v4, v3, v5, vcc
	v_mov_b32_e32 v5, v2
.LBB9_8:                                ;   in Loop: Header=BB9_4 Depth=1
	s_or_b64 exec, exec, s[4:5]
	v_or_b32_e32 v3, s9, v5
	v_cmp_ne_u64_e32 vcc, 0, v[2:3]
                                        ; implicit-def: $vgpr8_vgpr9
	s_and_saveexec_b64 s[4:5], vcc
	s_xor_b64 s[6:7], exec, s[4:5]
	s_cbranch_execz .LBB9_10
; %bb.9:                                ;   in Loop: Header=BB9_4 Depth=1
	s_ashr_i32 s40, s9, 31
	s_add_u32 s4, s8, s40
	s_mov_b32 s41, s40
	s_addc_u32 s5, s9, s40
	s_xor_b64 s[42:43], s[4:5], s[40:41]
	v_cvt_f32_u32_e32 v3, s42
	v_cvt_f32_u32_e32 v6, s43
	s_sub_u32 s39, 0, s42
	s_subb_u32 s41, 0, s43
	v_mac_f32_e32 v3, 0x4f800000, v6
	v_rcp_f32_e32 v3, v3
	v_mul_f32_e32 v3, 0x5f7ffffc, v3
	v_mul_f32_e32 v6, 0x2f800000, v3
	v_trunc_f32_e32 v6, v6
	v_mac_f32_e32 v3, 0xcf800000, v6
	v_cvt_u32_f32_e32 v6, v6
	v_cvt_u32_f32_e32 v3, v3
	v_readfirstlane_b32 s44, v6
	v_readfirstlane_b32 s4, v3
	s_mul_i32 s5, s39, s44
	s_mul_hi_u32 s46, s39, s4
	s_mul_i32 s45, s41, s4
	s_add_i32 s5, s46, s5
	s_add_i32 s5, s5, s45
	s_mul_i32 s47, s39, s4
	s_mul_i32 s46, s4, s5
	s_mul_hi_u32 s48, s4, s47
	s_mul_hi_u32 s45, s4, s5
	s_add_u32 s46, s48, s46
	s_addc_u32 s45, 0, s45
	s_mul_hi_u32 s49, s44, s47
	s_mul_i32 s47, s44, s47
	s_add_u32 s46, s46, s47
	s_mul_hi_u32 s48, s44, s5
	s_addc_u32 s45, s45, s49
	s_addc_u32 s46, s48, 0
	s_mul_i32 s5, s44, s5
	s_add_u32 s5, s45, s5
	s_addc_u32 s45, 0, s46
	s_add_u32 s46, s4, s5
	s_cselect_b64 s[4:5], -1, 0
	s_cmp_lg_u64 s[4:5], 0
	s_addc_u32 s44, s44, s45
	s_mul_i32 s4, s39, s44
	s_mul_hi_u32 s5, s39, s46
	s_add_i32 s4, s5, s4
	s_mul_i32 s41, s41, s46
	s_add_i32 s4, s4, s41
	s_mul_i32 s39, s39, s46
	s_mul_hi_u32 s41, s44, s39
	s_mul_i32 s45, s44, s39
	s_mul_i32 s48, s46, s4
	s_mul_hi_u32 s39, s46, s39
	s_mul_hi_u32 s47, s46, s4
	s_add_u32 s39, s39, s48
	s_addc_u32 s47, 0, s47
	s_add_u32 s39, s39, s45
	s_mul_hi_u32 s5, s44, s4
	s_addc_u32 s39, s47, s41
	s_addc_u32 s5, s5, 0
	s_mul_i32 s4, s44, s4
	s_add_u32 s4, s39, s4
	s_addc_u32 s39, 0, s5
	s_add_u32 s41, s46, s4
	s_cselect_b64 s[4:5], -1, 0
	v_ashrrev_i32_e32 v3, 31, v5
	s_cmp_lg_u64 s[4:5], 0
	v_add_co_u32_e32 v6, vcc, v4, v3
	s_addc_u32 s39, s44, s39
	v_xor_b32_e32 v9, v6, v3
	v_addc_co_u32_e32 v7, vcc, v5, v3, vcc
	v_mad_u64_u32 v[5:6], s[4:5], v9, s39, 0
	v_mul_hi_u32 v8, v9, s41
	v_xor_b32_e32 v10, v7, v3
	v_xor_b32_e32 v3, s40, v3
	v_add_co_u32_e32 v11, vcc, v8, v5
	v_addc_co_u32_e32 v14, vcc, 0, v6, vcc
	v_mad_u64_u32 v[5:6], s[4:5], v10, s41, 0
	v_mad_u64_u32 v[7:8], s[4:5], v10, s39, 0
	v_add_co_u32_e32 v5, vcc, v11, v5
	v_addc_co_u32_e32 v5, vcc, v14, v6, vcc
	v_addc_co_u32_e32 v6, vcc, 0, v8, vcc
	v_add_co_u32_e32 v7, vcc, v5, v7
	v_addc_co_u32_e32 v8, vcc, 0, v6, vcc
	v_mul_lo_u32 v11, s43, v7
	v_mul_lo_u32 v14, s42, v8
	v_mad_u64_u32 v[5:6], s[4:5], s42, v7, 0
	v_add3_u32 v6, v6, v14, v11
	v_sub_u32_e32 v11, v10, v6
	v_mov_b32_e32 v14, s43
	v_sub_co_u32_e32 v5, vcc, v9, v5
	v_subb_co_u32_e64 v9, s[4:5], v11, v14, vcc
	v_subrev_co_u32_e64 v11, s[4:5], s42, v5
	v_subbrev_co_u32_e64 v9, s[4:5], 0, v9, s[4:5]
	v_cmp_le_u32_e64 s[4:5], s43, v9
	v_cndmask_b32_e64 v14, 0, -1, s[4:5]
	v_cmp_le_u32_e64 s[4:5], s42, v11
	v_cndmask_b32_e64 v11, 0, -1, s[4:5]
	v_cmp_eq_u32_e64 s[4:5], s43, v9
	v_cndmask_b32_e64 v9, v14, v11, s[4:5]
	v_add_co_u32_e64 v11, s[4:5], 2, v7
	v_subb_co_u32_e32 v6, vcc, v10, v6, vcc
	v_addc_co_u32_e64 v14, s[4:5], 0, v8, s[4:5]
	v_cmp_le_u32_e32 vcc, s43, v6
	v_add_co_u32_e64 v15, s[4:5], 1, v7
	v_cndmask_b32_e64 v10, 0, -1, vcc
	v_cmp_le_u32_e32 vcc, s42, v5
	v_addc_co_u32_e64 v16, s[4:5], 0, v8, s[4:5]
	v_cndmask_b32_e64 v5, 0, -1, vcc
	v_cmp_eq_u32_e32 vcc, s43, v6
	v_cmp_ne_u32_e64 s[4:5], 0, v9
	v_cndmask_b32_e32 v5, v10, v5, vcc
	v_cmp_ne_u32_e32 vcc, 0, v5
	v_cndmask_b32_e64 v6, v15, v11, s[4:5]
	v_cndmask_b32_e64 v9, v16, v14, s[4:5]
	v_cndmask_b32_e32 v6, v7, v6, vcc
	v_cndmask_b32_e32 v5, v8, v9, vcc
	v_xor_b32_e32 v6, v6, v3
	v_xor_b32_e32 v5, v5, v3
	v_sub_co_u32_e32 v8, vcc, v6, v3
	v_subb_co_u32_e32 v9, vcc, v5, v3, vcc
.LBB9_10:                               ;   in Loop: Header=BB9_4 Depth=1
	s_andn2_saveexec_b64 s[4:5], s[6:7]
	s_cbranch_execz .LBB9_12
; %bb.11:                               ;   in Loop: Header=BB9_4 Depth=1
	v_cvt_f32_u32_e32 v3, s8
	s_sub_i32 s6, 0, s8
	v_mov_b32_e32 v9, v2
	v_rcp_iflag_f32_e32 v3, v3
	v_mul_f32_e32 v3, 0x4f7ffffe, v3
	v_cvt_u32_f32_e32 v3, v3
	v_mul_lo_u32 v5, s6, v3
	v_mul_hi_u32 v5, v3, v5
	v_add_u32_e32 v3, v3, v5
	v_mul_hi_u32 v3, v4, v3
	v_mul_lo_u32 v5, v3, s8
	v_add_u32_e32 v6, 1, v3
	v_sub_u32_e32 v5, v4, v5
	v_subrev_u32_e32 v7, s8, v5
	v_cmp_le_u32_e32 vcc, s8, v5
	v_cndmask_b32_e32 v5, v5, v7, vcc
	v_cndmask_b32_e32 v3, v3, v6, vcc
	v_add_u32_e32 v6, 1, v3
	v_cmp_le_u32_e32 vcc, s8, v5
	v_cndmask_b32_e32 v8, v3, v6, vcc
.LBB9_12:                               ;   in Loop: Header=BB9_4 Depth=1
	s_or_b64 exec, exec, s[4:5]
	v_mul_lo_u32 v5, v8, s8
	v_mov_b32_e32 v3, 0
	v_sub_u32_e32 v5, v4, v5
	v_add_u32_e32 v6, s20, v5
	v_cmp_le_i32_e32 vcc, s16, v6
	v_mov_b32_e32 v5, 0
	s_and_saveexec_b64 s[4:5], vcc
	s_cbranch_execz .LBB9_14
; %bb.13:                               ;   in Loop: Header=BB9_4 Depth=1
	v_subrev_u32_e32 v5, s16, v6
	v_mul_hi_u32 v7, v5, v12
	v_mul_lo_u32 v10, v7, s27
	v_add_u32_e32 v11, 1, v7
	v_sub_u32_e32 v5, v5, v10
	v_cmp_le_u32_e32 vcc, s27, v5
	v_subrev_u32_e32 v10, s27, v5
	v_cndmask_b32_e32 v7, v7, v11, vcc
	v_cndmask_b32_e32 v5, v5, v10, vcc
	v_add_u32_e32 v10, 1, v7
	v_cmp_le_u32_e32 vcc, s27, v5
	v_cndmask_b32_e32 v5, v7, v10, vcc
	v_xor_b32_e32 v5, s53, v5
	v_subrev_u32_e32 v5, s53, v5
	v_add_u32_e32 v5, 1, v5
.LBB9_14:                               ;   in Loop: Header=BB9_4 Depth=1
	s_or_b64 exec, exec, s[4:5]
	v_mul_lo_u32 v4, v4, s10
	v_sub_u32_e32 v4, v0, v4
	v_add_u32_e32 v4, s21, v4
	v_cmp_le_i32_e32 vcc, s17, v4
	s_and_saveexec_b64 s[4:5], vcc
	s_cbranch_execz .LBB9_16
; %bb.15:                               ;   in Loop: Header=BB9_4 Depth=1
	v_subrev_u32_e32 v3, s17, v4
	v_mul_hi_u32 v7, v3, v13
	v_mul_lo_u32 v10, v7, s33
	v_add_u32_e32 v11, 1, v7
	v_sub_u32_e32 v3, v3, v10
	v_cmp_le_u32_e32 vcc, s33, v3
	v_subrev_u32_e32 v10, s33, v3
	v_cndmask_b32_e32 v7, v7, v11, vcc
	v_cndmask_b32_e32 v3, v3, v10, vcc
	v_add_u32_e32 v10, 1, v7
	v_cmp_le_u32_e32 vcc, s33, v3
	v_cndmask_b32_e32 v3, v7, v10, vcc
	v_xor_b32_e32 v3, s54, v3
	v_subrev_u32_e32 v3, s54, v3
	v_add_u32_e32 v3, 1, v3
.LBB9_16:                               ;   in Loop: Header=BB9_4 Depth=1
	s_or_b64 exec, exec, s[4:5]
	v_sub_u32_e32 v7, 0, v6
	v_max_i32_e32 v7, v6, v7
	v_mul_hi_u32 v10, v7, v12
	v_ashrrev_i32_e32 v6, 31, v6
	v_xor_b32_e32 v6, s53, v6
	v_mul_lo_u32 v11, v10, s27
	v_add_u32_e32 v14, 1, v10
	v_sub_u32_e32 v7, v7, v11
	v_cmp_le_u32_e32 vcc, s27, v7
	v_subrev_u32_e32 v11, s27, v7
	v_cndmask_b32_e32 v10, v10, v14, vcc
	v_cndmask_b32_e32 v7, v7, v11, vcc
	v_add_u32_e32 v11, 1, v10
	v_cmp_le_u32_e32 vcc, s27, v7
	v_cndmask_b32_e32 v7, v10, v11, vcc
	v_xor_b32_e32 v7, v7, v6
	v_sub_u32_e32 v6, v7, v6
	v_add_u32_e32 v6, 1, v6
	v_min_i32_e32 v14, s12, v6
	v_mov_b32_e32 v6, 0
	v_mov_b32_e32 v7, 0
	v_cmp_lt_i32_e32 vcc, v5, v14
	s_and_saveexec_b64 s[40:41], vcc
	s_cbranch_execz .LBB9_3
; %bb.17:                               ;   in Loop: Header=BB9_4 Depth=1
	v_sub_u32_e32 v6, 0, v4
	v_max_i32_e32 v6, v4, v6
	v_mul_hi_u32 v7, v6, v13
	v_ashrrev_i32_e32 v4, 31, v4
	v_mul_lo_u32 v9, s30, v9
	v_mul_lo_u32 v16, s31, v8
	;; [unrolled: 1-line block ×3, first 2 shown]
	v_add_u32_e32 v11, 1, v7
	v_xor_b32_e32 v4, s54, v4
	s_mov_b64 s[42:43], 0
	v_sub_u32_e32 v6, v6, v10
	v_cmp_le_u32_e32 vcc, s33, v6
	v_cndmask_b32_e32 v10, v7, v11, vcc
	v_subrev_u32_e32 v7, s33, v6
	v_cndmask_b32_e32 v11, v6, v7, vcc
	v_ashrrev_i32_e32 v6, 31, v5
	v_lshlrev_b64 v[6:7], 3, v[5:6]
	v_add_u32_e32 v15, 1, v10
	v_mad_u64_u32 v[6:7], s[4:5], s30, v8, v[6:7]
	v_cmp_le_u32_e32 vcc, s33, v11
	v_cndmask_b32_e32 v8, v10, v15, vcc
	v_xor_b32_e32 v8, v8, v4
	v_sub_u32_e32 v10, v8, v4
	v_ashrrev_i32_e32 v4, 31, v3
	v_add3_u32 v9, v16, v7, v9
	v_lshlrev_b64 v[7:8], 3, v[3:4]
	v_mul_lo_u32 v9, s14, v9
	v_mad_u64_u32 v[7:8], s[4:5], s14, v6, v[7:8]
	v_mul_lo_u32 v6, s15, v6
	v_add_u32_e32 v4, 1, v10
	v_mul_lo_u32 v10, s19, v3
	v_min_i32_e32 v4, s14, v4
	v_add3_u32 v6, v6, v8, v9
	v_mov_b32_e32 v9, s29
	v_add_co_u32_e32 v8, vcc, s28, v7
	v_addc_co_u32_e32 v9, vcc, v9, v6, vcc
	v_mov_b32_e32 v6, 0
	v_cmp_lt_i32_e64 s[4:5], v3, v4
	v_add_u32_e32 v15, s13, v10
	v_add_u32_e32 v16, s55, v10
	v_sub_u32_e32 v17, s21, v10
	v_mov_b32_e32 v7, 0
	s_branch .LBB9_20
.LBB9_18:                               ;   in Loop: Header=BB9_20 Depth=2
	s_or_b64 exec, exec, s[46:47]
.LBB9_19:                               ;   in Loop: Header=BB9_20 Depth=2
	s_or_b64 exec, exec, s[44:45]
	v_add_u32_e32 v5, 1, v5
	v_cmp_ge_i32_e32 vcc, v5, v14
	v_mov_b32_e32 v10, s35
	s_or_b64 s[42:43], vcc, s[42:43]
	v_add_co_u32_e32 v8, vcc, s34, v8
	v_addc_co_u32_e32 v9, vcc, v9, v10, vcc
	s_andn2_b64 exec, exec, s[42:43]
	s_cbranch_execz .LBB9_2
.LBB9_20:                               ;   Parent Loop BB9_4 Depth=1
                                        ; =>  This Loop Header: Depth=2
                                        ;       Child Loop BB9_23 Depth 3
	s_and_saveexec_b64 s[44:45], s[4:5]
	s_cbranch_execz .LBB9_19
; %bb.21:                               ;   in Loop: Header=BB9_20 Depth=2
	v_mul_lo_u32 v10, v5, s18
	s_mov_b64 s[46:47], 0
	v_mov_b32_e32 v21, v16
	v_mov_b32_e32 v22, v15
	v_subrev_u32_e32 v10, s20, v10
	v_add_u32_e32 v11, s16, v10
	v_min_i32_e32 v11, s50, v11
	v_max_i32_e32 v19, 0, v10
	v_min_i32_e32 v20, s8, v11
	v_sub_u32_e32 v18, v11, v10
	v_mov_b32_e32 v11, v9
	v_cmp_gt_i32_e64 s[6:7], v20, v19
	v_sub_u32_e32 v19, v20, v19
	v_mov_b32_e32 v20, v17
	v_mov_b32_e32 v10, v8
	v_mov_b32_e32 v23, v3
	s_branch .LBB9_23
.LBB9_22:                               ;   in Loop: Header=BB9_23 Depth=3
	s_or_b64 exec, exec, s[48:49]
	v_add_co_u32_e32 v10, vcc, 8, v10
	v_add_u32_e32 v23, 1, v23
	v_addc_co_u32_e32 v11, vcc, 0, v11, vcc
	v_cmp_ge_i32_e32 vcc, v23, v4
	v_add_u32_e32 v22, s19, v22
	v_add_u32_e32 v21, s19, v21
	s_or_b64 s[46:47], vcc, s[46:47]
	v_subrev_u32_e32 v20, s19, v20
	s_andn2_b64 exec, exec, s[46:47]
	s_cbranch_execz .LBB9_18
.LBB9_23:                               ;   Parent Loop BB9_4 Depth=1
                                        ;     Parent Loop BB9_20 Depth=2
                                        ; =>    This Inner Loop Header: Depth=3
	v_add_u32_e32 v25, s17, v22
	v_mov_b32_e32 v26, s10
	v_max_i32_e32 v24, 0, v22
	v_min3_i32 v25, v25, s51, v26
	v_cmp_gt_i32_e32 vcc, v25, v24
	s_and_b64 s[56:57], s[6:7], vcc
	s_and_saveexec_b64 s[48:49], s[56:57]
	s_cbranch_execz .LBB9_22
; %bb.24:                               ;   in Loop: Header=BB9_23 Depth=3
	global_load_dwordx2 v[26:27], v[10:11], off
	v_min_i32_e32 v28, s51, v21
	v_sub_u32_e32 v24, v25, v24
	v_add_u32_e32 v25, v28, v20
	v_mul_lo_u32 v24, v24, v19
	v_mul_lo_u32 v25, v25, v18
	v_mov_b32_e32 v28, s26
	v_cndmask_b32_e64 v24, v24, v25, s[0:1]
	v_cndmask_b32_e64 v24, v24, v28, s[2:3]
	v_cvt_f64_i32_e32 v[24:25], v24
	s_waitcnt vmcnt(0)
	v_div_scale_f64 v[28:29], s[56:57], v[24:25], v[24:25], v[26:27]
	v_div_scale_f64 v[34:35], vcc, v[26:27], v[24:25], v[26:27]
	v_rcp_f64_e32 v[30:31], v[28:29]
	v_fma_f64 v[32:33], -v[28:29], v[30:31], 1.0
	v_fma_f64 v[30:31], v[30:31], v[32:33], v[30:31]
	v_fma_f64 v[32:33], -v[28:29], v[30:31], 1.0
	v_fma_f64 v[30:31], v[30:31], v[32:33], v[30:31]
	v_mul_f64 v[32:33], v[34:35], v[30:31]
	v_fma_f64 v[28:29], -v[28:29], v[32:33], v[34:35]
	v_div_fmas_f64 v[28:29], v[28:29], v[30:31], v[32:33]
	v_div_fixup_f64 v[24:25], v[28:29], v[24:25], v[26:27]
	v_add_f64 v[6:7], v[6:7], v[24:25]
	s_branch .LBB9_22
.LBB9_25:
	s_endpgm
	.section	.rodata,"a",@progbits
	.p2align	6, 0x0
	.amdhsa_kernel _ZN2at6native12_GLOBAL__N_134avg_pool2d_backward_out_cuda_frameIddiEEvT1_PKT_llllliiiiiiPS4_ibb
		.amdhsa_group_segment_fixed_size 0
		.amdhsa_private_segment_fixed_size 0
		.amdhsa_kernarg_size 352
		.amdhsa_user_sgpr_count 6
		.amdhsa_user_sgpr_private_segment_buffer 1
		.amdhsa_user_sgpr_dispatch_ptr 0
		.amdhsa_user_sgpr_queue_ptr 0
		.amdhsa_user_sgpr_kernarg_segment_ptr 1
		.amdhsa_user_sgpr_dispatch_id 0
		.amdhsa_user_sgpr_flat_scratch_init 0
		.amdhsa_user_sgpr_private_segment_size 0
		.amdhsa_uses_dynamic_stack 0
		.amdhsa_system_sgpr_private_segment_wavefront_offset 0
		.amdhsa_system_sgpr_workgroup_id_x 1
		.amdhsa_system_sgpr_workgroup_id_y 0
		.amdhsa_system_sgpr_workgroup_id_z 0
		.amdhsa_system_sgpr_workgroup_info 0
		.amdhsa_system_vgpr_workitem_id 0
		.amdhsa_next_free_vgpr 36
		.amdhsa_next_free_sgpr 58
		.amdhsa_reserve_vcc 1
		.amdhsa_reserve_flat_scratch 0
		.amdhsa_float_round_mode_32 0
		.amdhsa_float_round_mode_16_64 0
		.amdhsa_float_denorm_mode_32 3
		.amdhsa_float_denorm_mode_16_64 3
		.amdhsa_dx10_clamp 1
		.amdhsa_ieee_mode 1
		.amdhsa_fp16_overflow 0
		.amdhsa_exception_fp_ieee_invalid_op 0
		.amdhsa_exception_fp_denorm_src 0
		.amdhsa_exception_fp_ieee_div_zero 0
		.amdhsa_exception_fp_ieee_overflow 0
		.amdhsa_exception_fp_ieee_underflow 0
		.amdhsa_exception_fp_ieee_inexact 0
		.amdhsa_exception_int_div_zero 0
	.end_amdhsa_kernel
	.section	.text._ZN2at6native12_GLOBAL__N_134avg_pool2d_backward_out_cuda_frameIddiEEvT1_PKT_llllliiiiiiPS4_ibb,"axG",@progbits,_ZN2at6native12_GLOBAL__N_134avg_pool2d_backward_out_cuda_frameIddiEEvT1_PKT_llllliiiiiiPS4_ibb,comdat
.Lfunc_end9:
	.size	_ZN2at6native12_GLOBAL__N_134avg_pool2d_backward_out_cuda_frameIddiEEvT1_PKT_llllliiiiiiPS4_ibb, .Lfunc_end9-_ZN2at6native12_GLOBAL__N_134avg_pool2d_backward_out_cuda_frameIddiEEvT1_PKT_llllliiiiiiPS4_ibb
                                        ; -- End function
	.set _ZN2at6native12_GLOBAL__N_134avg_pool2d_backward_out_cuda_frameIddiEEvT1_PKT_llllliiiiiiPS4_ibb.num_vgpr, 36
	.set _ZN2at6native12_GLOBAL__N_134avg_pool2d_backward_out_cuda_frameIddiEEvT1_PKT_llllliiiiiiPS4_ibb.num_agpr, 0
	.set _ZN2at6native12_GLOBAL__N_134avg_pool2d_backward_out_cuda_frameIddiEEvT1_PKT_llllliiiiiiPS4_ibb.numbered_sgpr, 58
	.set _ZN2at6native12_GLOBAL__N_134avg_pool2d_backward_out_cuda_frameIddiEEvT1_PKT_llllliiiiiiPS4_ibb.num_named_barrier, 0
	.set _ZN2at6native12_GLOBAL__N_134avg_pool2d_backward_out_cuda_frameIddiEEvT1_PKT_llllliiiiiiPS4_ibb.private_seg_size, 0
	.set _ZN2at6native12_GLOBAL__N_134avg_pool2d_backward_out_cuda_frameIddiEEvT1_PKT_llllliiiiiiPS4_ibb.uses_vcc, 1
	.set _ZN2at6native12_GLOBAL__N_134avg_pool2d_backward_out_cuda_frameIddiEEvT1_PKT_llllliiiiiiPS4_ibb.uses_flat_scratch, 0
	.set _ZN2at6native12_GLOBAL__N_134avg_pool2d_backward_out_cuda_frameIddiEEvT1_PKT_llllliiiiiiPS4_ibb.has_dyn_sized_stack, 0
	.set _ZN2at6native12_GLOBAL__N_134avg_pool2d_backward_out_cuda_frameIddiEEvT1_PKT_llllliiiiiiPS4_ibb.has_recursion, 0
	.set _ZN2at6native12_GLOBAL__N_134avg_pool2d_backward_out_cuda_frameIddiEEvT1_PKT_llllliiiiiiPS4_ibb.has_indirect_call, 0
	.section	.AMDGPU.csdata,"",@progbits
; Kernel info:
; codeLenInByte = 2736
; TotalNumSgprs: 62
; NumVgprs: 36
; ScratchSize: 0
; MemoryBound: 0
; FloatMode: 240
; IeeeMode: 1
; LDSByteSize: 0 bytes/workgroup (compile time only)
; SGPRBlocks: 7
; VGPRBlocks: 8
; NumSGPRsForWavesPerEU: 62
; NumVGPRsForWavesPerEU: 36
; Occupancy: 7
; WaveLimiterHint : 0
; COMPUTE_PGM_RSRC2:SCRATCH_EN: 0
; COMPUTE_PGM_RSRC2:USER_SGPR: 6
; COMPUTE_PGM_RSRC2:TRAP_HANDLER: 0
; COMPUTE_PGM_RSRC2:TGID_X_EN: 1
; COMPUTE_PGM_RSRC2:TGID_Y_EN: 0
; COMPUTE_PGM_RSRC2:TGID_Z_EN: 0
; COMPUTE_PGM_RSRC2:TIDIG_COMP_CNT: 0
	.section	.text._ZN2at6native12_GLOBAL__N_139avg_pool2d_backward_out_cuda_frame_nhwcIddlEEvT1_PKT_llliiiiiiiiPS4_ibb,"axG",@progbits,_ZN2at6native12_GLOBAL__N_139avg_pool2d_backward_out_cuda_frame_nhwcIddlEEvT1_PKT_llliiiiiiiiPS4_ibb,comdat
	.globl	_ZN2at6native12_GLOBAL__N_139avg_pool2d_backward_out_cuda_frame_nhwcIddlEEvT1_PKT_llliiiiiiiiPS4_ibb ; -- Begin function _ZN2at6native12_GLOBAL__N_139avg_pool2d_backward_out_cuda_frame_nhwcIddlEEvT1_PKT_llliiiiiiiiPS4_ibb
	.p2align	8
	.type	_ZN2at6native12_GLOBAL__N_139avg_pool2d_backward_out_cuda_frame_nhwcIddlEEvT1_PKT_llliiiiiiiiPS4_ibb,@function
_ZN2at6native12_GLOBAL__N_139avg_pool2d_backward_out_cuda_frame_nhwcIddlEEvT1_PKT_llliiiiiiiiPS4_ibb: ; @_ZN2at6native12_GLOBAL__N_139avg_pool2d_backward_out_cuda_frame_nhwcIddlEEvT1_PKT_llliiiiiiiiPS4_ibb
; %bb.0:
	s_load_dword s0, s[4:5], 0x64
	s_load_dwordx8 s[8:15], s[4:5], 0x0
	s_add_u32 s30, s4, 0x58
	v_mov_b32_e32 v2, 0
	s_addc_u32 s31, s5, 0
	s_waitcnt lgkmcnt(0)
	s_and_b32 s7, s0, 0xffff
	v_mov_b32_e32 v1, v2
	v_mov_b32_e32 v3, s6
	v_mad_u64_u32 v[0:1], s[0:1], s7, v3, v[0:1]
	v_cmp_gt_i64_e32 vcc, s[8:9], v[0:1]
	s_and_saveexec_b64 s[0:1], vcc
	s_cbranch_execz .LBB10_29
; %bb.1:
	s_load_dwordx4 s[24:27], s[4:5], 0x48
	s_load_dword s2, s[4:5], 0x54
	s_load_dwordx2 s[28:29], s[4:5], 0x20
	s_load_dwordx8 s[16:23], s[4:5], 0x28
	s_waitcnt lgkmcnt(0)
	s_bitcmp1_b32 s27, 0
	s_cselect_b64 s[0:1], -1, 0
	s_bitcmp1_b32 s2, 8
	s_cselect_b64 s[2:3], -1, 0
	s_ashr_i32 s5, s16, 31
	s_mul_hi_u32 s27, s12, s16
	s_mul_i32 s5, s12, s5
	s_load_dword s4, s[30:31], 0x0
	s_ashr_i32 s6, s17, 31
	s_add_i32 s5, s27, s5
	s_mul_i32 s27, s13, s16
	s_mul_i32 s30, s12, s16
	s_add_i32 s5, s5, s27
	s_mul_i32 s6, s30, s6
	s_mul_hi_u32 s27, s30, s17
	s_add_i32 s6, s27, s6
	s_abs_i32 s27, s20
	v_cvt_f32_u32_e32 v3, s27
	s_abs_i32 s33, s21
	v_cvt_f32_u32_e32 v4, s33
	s_mul_i32 s5, s5, s17
	v_rcp_iflag_f32_e32 v3, v3
	s_add_i32 s46, s6, s5
	v_rcp_iflag_f32_e32 v4, v4
	s_sub_i32 s5, 0, s27
	v_mul_f32_e32 v3, 0x4f7ffffe, v3
	v_cvt_u32_f32_e32 v3, v3
	v_mul_f32_e32 v4, 0x4f7ffffe, v4
	v_cvt_u32_f32_e32 v4, v4
	s_mul_i32 s47, s30, s17
	v_mul_lo_u32 v5, s5, v3
	s_sub_i32 s5, 0, s33
	v_mul_lo_u32 v6, s5, v4
	s_add_i32 s48, s22, s14
	v_mul_hi_u32 v5, v3, v5
	s_add_i32 s49, s23, s28
	v_mul_hi_u32 v6, v4, v6
	s_waitcnt lgkmcnt(0)
	s_mul_i32 s50, s4, s7
	s_ashr_i32 s51, s20, 31
	v_add_u32_e32 v10, v3, v5
	s_ashr_i32 s52, s21, 31
	v_add_u32_e32 v11, v4, v6
	s_sub_i32 s53, 0, s23
	s_sub_i32 s54, s19, s23
	s_mov_b64 s[30:31], 0
	s_ashr_i32 s34, s13, 31
	s_branch .LBB10_4
.LBB10_2:                               ;   in Loop: Header=BB10_4 Depth=1
	s_or_b64 exec, exec, s[38:39]
.LBB10_3:                               ;   in Loop: Header=BB10_4 Depth=1
	s_or_b64 exec, exec, s[36:37]
	v_lshlrev_b64 v[3:4], 3, v[0:1]
	v_add_co_u32_e32 v0, vcc, s50, v0
	v_addc_co_u32_e32 v1, vcc, 0, v1, vcc
	v_cmp_le_i64_e32 vcc, s[8:9], v[0:1]
	v_mov_b32_e32 v7, s25
	v_add_co_u32_e64 v3, s[4:5], s24, v3
	v_addc_co_u32_e64 v4, s[4:5], v7, v4, s[4:5]
	s_or_b64 s[30:31], vcc, s[30:31]
	global_store_dwordx2 v[3:4], v[5:6], off
	s_andn2_b64 exec, exec, s[30:31]
	s_cbranch_execz .LBB10_29
.LBB10_4:                               ; =>This Loop Header: Depth=1
                                        ;     Child Loop BB10_24 Depth 2
                                        ;       Child Loop BB10_27 Depth 3
	v_or_b32_e32 v3, s13, v1
	v_cmp_ne_u64_e32 vcc, 0, v[2:3]
                                        ; implicit-def: $vgpr4_vgpr5
	s_and_saveexec_b64 s[4:5], vcc
	s_xor_b64 s[6:7], exec, s[4:5]
	s_cbranch_execz .LBB10_6
; %bb.5:                                ;   in Loop: Header=BB10_4 Depth=1
	s_add_u32 s4, s12, s34
	s_mov_b32 s35, s34
	s_addc_u32 s5, s13, s34
	s_xor_b64 s[36:37], s[4:5], s[34:35]
	v_cvt_f32_u32_e32 v3, s36
	v_cvt_f32_u32_e32 v4, s37
	s_sub_u32 s35, 0, s36
	s_subb_u32 s38, 0, s37
	v_ashrrev_i32_e32 v7, 31, v1
	v_mac_f32_e32 v3, 0x4f800000, v4
	v_rcp_f32_e32 v3, v3
	v_mul_f32_e32 v3, 0x5f7ffffc, v3
	v_mul_f32_e32 v4, 0x2f800000, v3
	v_trunc_f32_e32 v4, v4
	v_mac_f32_e32 v3, 0xcf800000, v4
	v_cvt_u32_f32_e32 v4, v4
	v_cvt_u32_f32_e32 v3, v3
	v_readfirstlane_b32 s39, v4
	v_readfirstlane_b32 s4, v3
	s_mul_i32 s5, s35, s39
	s_mul_hi_u32 s41, s35, s4
	s_mul_i32 s40, s38, s4
	s_add_i32 s5, s41, s5
	s_add_i32 s5, s5, s40
	s_mul_i32 s42, s35, s4
	s_mul_i32 s41, s4, s5
	s_mul_hi_u32 s43, s4, s42
	s_mul_hi_u32 s40, s4, s5
	s_add_u32 s41, s43, s41
	s_addc_u32 s40, 0, s40
	s_mul_hi_u32 s44, s39, s42
	s_mul_i32 s42, s39, s42
	s_add_u32 s41, s41, s42
	s_mul_hi_u32 s43, s39, s5
	s_addc_u32 s40, s40, s44
	s_addc_u32 s41, s43, 0
	s_mul_i32 s5, s39, s5
	s_add_u32 s5, s40, s5
	s_addc_u32 s40, 0, s41
	s_add_u32 s41, s4, s5
	s_cselect_b64 s[4:5], -1, 0
	s_cmp_lg_u64 s[4:5], 0
	s_addc_u32 s39, s39, s40
	s_mul_i32 s4, s35, s39
	s_mul_hi_u32 s5, s35, s41
	s_add_i32 s4, s5, s4
	s_mul_i32 s38, s38, s41
	s_add_i32 s4, s4, s38
	s_mul_i32 s35, s35, s41
	s_mul_hi_u32 s38, s39, s35
	s_mul_i32 s40, s39, s35
	s_mul_i32 s43, s41, s4
	s_mul_hi_u32 s35, s41, s35
	s_mul_hi_u32 s42, s41, s4
	s_add_u32 s35, s35, s43
	s_addc_u32 s42, 0, s42
	s_add_u32 s35, s35, s40
	s_mul_hi_u32 s5, s39, s4
	s_addc_u32 s35, s42, s38
	s_addc_u32 s5, s5, 0
	s_mul_i32 s4, s39, s4
	s_add_u32 s4, s35, s4
	s_addc_u32 s35, 0, s5
	s_add_u32 s38, s41, s4
	s_cselect_b64 s[4:5], -1, 0
	s_cmp_lg_u64 s[4:5], 0
	v_add_co_u32_e32 v3, vcc, v0, v7
	s_addc_u32 s35, s39, s35
	v_xor_b32_e32 v8, v3, v7
	v_mad_u64_u32 v[3:4], s[4:5], v8, s35, 0
	v_mul_hi_u32 v6, v8, s38
	v_addc_co_u32_e32 v5, vcc, v1, v7, vcc
	v_xor_b32_e32 v9, v5, v7
	v_add_co_u32_e32 v12, vcc, v6, v3
	v_addc_co_u32_e32 v13, vcc, 0, v4, vcc
	v_mad_u64_u32 v[3:4], s[4:5], v9, s38, 0
	v_mad_u64_u32 v[5:6], s[4:5], v9, s35, 0
	v_add_co_u32_e32 v3, vcc, v12, v3
	v_addc_co_u32_e32 v3, vcc, v13, v4, vcc
	v_addc_co_u32_e32 v4, vcc, 0, v6, vcc
	v_add_co_u32_e32 v5, vcc, v3, v5
	v_addc_co_u32_e32 v6, vcc, 0, v4, vcc
	v_mul_lo_u32 v12, s37, v5
	v_mul_lo_u32 v13, s36, v6
	v_mad_u64_u32 v[3:4], s[4:5], s36, v5, 0
	v_add3_u32 v4, v4, v13, v12
	v_sub_u32_e32 v12, v9, v4
	v_mov_b32_e32 v13, s37
	v_sub_co_u32_e32 v3, vcc, v8, v3
	v_subb_co_u32_e64 v8, s[4:5], v12, v13, vcc
	v_subrev_co_u32_e64 v12, s[4:5], s36, v3
	v_subbrev_co_u32_e64 v8, s[4:5], 0, v8, s[4:5]
	v_cmp_le_u32_e64 s[4:5], s37, v8
	v_cndmask_b32_e64 v13, 0, -1, s[4:5]
	v_cmp_le_u32_e64 s[4:5], s36, v12
	v_cndmask_b32_e64 v12, 0, -1, s[4:5]
	v_cmp_eq_u32_e64 s[4:5], s37, v8
	v_cndmask_b32_e64 v8, v13, v12, s[4:5]
	v_add_co_u32_e64 v12, s[4:5], 2, v5
	v_subb_co_u32_e32 v4, vcc, v9, v4, vcc
	v_addc_co_u32_e64 v13, s[4:5], 0, v6, s[4:5]
	v_cmp_le_u32_e32 vcc, s37, v4
	v_add_co_u32_e64 v14, s[4:5], 1, v5
	v_cndmask_b32_e64 v9, 0, -1, vcc
	v_cmp_le_u32_e32 vcc, s36, v3
	v_addc_co_u32_e64 v15, s[4:5], 0, v6, s[4:5]
	v_cndmask_b32_e64 v3, 0, -1, vcc
	v_cmp_eq_u32_e32 vcc, s37, v4
	v_cmp_ne_u32_e64 s[4:5], 0, v8
	v_cndmask_b32_e32 v3, v9, v3, vcc
	v_cmp_ne_u32_e32 vcc, 0, v3
	v_cndmask_b32_e64 v4, v14, v12, s[4:5]
	v_cndmask_b32_e64 v8, v15, v13, s[4:5]
	v_cndmask_b32_e32 v4, v5, v4, vcc
	v_xor_b32_e32 v5, s34, v7
	v_cndmask_b32_e32 v3, v6, v8, vcc
	v_xor_b32_e32 v4, v4, v5
	v_xor_b32_e32 v3, v3, v5
	v_sub_co_u32_e32 v4, vcc, v4, v5
	v_subb_co_u32_e32 v5, vcc, v3, v5, vcc
.LBB10_6:                               ;   in Loop: Header=BB10_4 Depth=1
	s_andn2_saveexec_b64 s[4:5], s[6:7]
	s_cbranch_execz .LBB10_8
; %bb.7:                                ;   in Loop: Header=BB10_4 Depth=1
	v_cvt_f32_u32_e32 v3, s12
	s_sub_i32 s6, 0, s12
	v_rcp_iflag_f32_e32 v3, v3
	v_mul_f32_e32 v3, 0x4f7ffffe, v3
	v_cvt_u32_f32_e32 v3, v3
	v_mul_lo_u32 v4, s6, v3
	v_mul_hi_u32 v4, v3, v4
	v_add_u32_e32 v3, v3, v4
	v_mul_hi_u32 v3, v0, v3
	v_mul_lo_u32 v4, v3, s12
	v_add_u32_e32 v5, 1, v3
	v_sub_u32_e32 v4, v0, v4
	v_subrev_u32_e32 v6, s12, v4
	v_cmp_le_u32_e32 vcc, s12, v4
	v_cndmask_b32_e32 v4, v4, v6, vcc
	v_cndmask_b32_e32 v3, v3, v5, vcc
	v_add_u32_e32 v5, 1, v3
	v_cmp_le_u32_e32 vcc, s12, v4
	v_cndmask_b32_e32 v4, v3, v5, vcc
	v_mov_b32_e32 v5, v2
.LBB10_8:                               ;   in Loop: Header=BB10_4 Depth=1
	s_or_b64 exec, exec, s[4:5]
	v_or_b32_e32 v3, s29, v5
	v_cmp_ne_u64_e32 vcc, 0, v[2:3]
                                        ; implicit-def: $vgpr6_vgpr7
	s_and_saveexec_b64 s[4:5], vcc
	s_xor_b64 s[6:7], exec, s[4:5]
	s_cbranch_execz .LBB10_10
; %bb.9:                                ;   in Loop: Header=BB10_4 Depth=1
	s_ashr_i32 s36, s29, 31
	s_add_u32 s4, s28, s36
	s_mov_b32 s37, s36
	s_addc_u32 s5, s29, s36
	s_xor_b64 s[38:39], s[4:5], s[36:37]
	v_cvt_f32_u32_e32 v3, s38
	v_cvt_f32_u32_e32 v6, s39
	s_sub_u32 s35, 0, s38
	s_subb_u32 s37, 0, s39
	v_mac_f32_e32 v3, 0x4f800000, v6
	v_rcp_f32_e32 v3, v3
	v_mul_f32_e32 v3, 0x5f7ffffc, v3
	v_mul_f32_e32 v6, 0x2f800000, v3
	v_trunc_f32_e32 v6, v6
	v_mac_f32_e32 v3, 0xcf800000, v6
	v_cvt_u32_f32_e32 v6, v6
	v_cvt_u32_f32_e32 v3, v3
	v_readfirstlane_b32 s40, v6
	v_readfirstlane_b32 s4, v3
	s_mul_i32 s5, s35, s40
	s_mul_hi_u32 s42, s35, s4
	s_mul_i32 s41, s37, s4
	s_add_i32 s5, s42, s5
	s_add_i32 s5, s5, s41
	s_mul_i32 s43, s35, s4
	s_mul_i32 s42, s4, s5
	s_mul_hi_u32 s44, s4, s43
	s_mul_hi_u32 s41, s4, s5
	s_add_u32 s42, s44, s42
	s_addc_u32 s41, 0, s41
	s_mul_hi_u32 s45, s40, s43
	s_mul_i32 s43, s40, s43
	s_add_u32 s42, s42, s43
	s_mul_hi_u32 s44, s40, s5
	s_addc_u32 s41, s41, s45
	s_addc_u32 s42, s44, 0
	s_mul_i32 s5, s40, s5
	s_add_u32 s5, s41, s5
	s_addc_u32 s41, 0, s42
	s_add_u32 s42, s4, s5
	s_cselect_b64 s[4:5], -1, 0
	s_cmp_lg_u64 s[4:5], 0
	s_addc_u32 s40, s40, s41
	s_mul_i32 s4, s35, s40
	s_mul_hi_u32 s5, s35, s42
	s_add_i32 s4, s5, s4
	s_mul_i32 s37, s37, s42
	s_add_i32 s4, s4, s37
	s_mul_i32 s35, s35, s42
	s_mul_hi_u32 s37, s40, s35
	s_mul_i32 s41, s40, s35
	s_mul_i32 s44, s42, s4
	s_mul_hi_u32 s35, s42, s35
	s_mul_hi_u32 s43, s42, s4
	s_add_u32 s35, s35, s44
	s_addc_u32 s43, 0, s43
	s_add_u32 s35, s35, s41
	s_mul_hi_u32 s5, s40, s4
	s_addc_u32 s35, s43, s37
	s_addc_u32 s5, s5, 0
	s_mul_i32 s4, s40, s4
	s_add_u32 s4, s35, s4
	s_addc_u32 s35, 0, s5
	s_add_u32 s37, s42, s4
	s_cselect_b64 s[4:5], -1, 0
	v_ashrrev_i32_e32 v3, 31, v5
	s_cmp_lg_u64 s[4:5], 0
	v_add_co_u32_e32 v6, vcc, v4, v3
	s_addc_u32 s35, s40, s35
	v_xor_b32_e32 v9, v6, v3
	v_addc_co_u32_e32 v7, vcc, v5, v3, vcc
	v_mad_u64_u32 v[5:6], s[4:5], v9, s35, 0
	v_mul_hi_u32 v8, v9, s37
	v_xor_b32_e32 v12, v7, v3
	v_xor_b32_e32 v3, s36, v3
	v_add_co_u32_e32 v13, vcc, v8, v5
	v_addc_co_u32_e32 v14, vcc, 0, v6, vcc
	v_mad_u64_u32 v[5:6], s[4:5], v12, s37, 0
	v_mad_u64_u32 v[7:8], s[4:5], v12, s35, 0
	v_add_co_u32_e32 v5, vcc, v13, v5
	v_addc_co_u32_e32 v5, vcc, v14, v6, vcc
	v_addc_co_u32_e32 v6, vcc, 0, v8, vcc
	v_add_co_u32_e32 v7, vcc, v5, v7
	v_addc_co_u32_e32 v8, vcc, 0, v6, vcc
	v_mul_lo_u32 v13, s39, v7
	v_mul_lo_u32 v14, s38, v8
	v_mad_u64_u32 v[5:6], s[4:5], s38, v7, 0
	v_add3_u32 v6, v6, v14, v13
	v_sub_u32_e32 v13, v12, v6
	v_mov_b32_e32 v14, s39
	v_sub_co_u32_e32 v5, vcc, v9, v5
	v_subb_co_u32_e64 v9, s[4:5], v13, v14, vcc
	v_subrev_co_u32_e64 v13, s[4:5], s38, v5
	v_subbrev_co_u32_e64 v9, s[4:5], 0, v9, s[4:5]
	v_cmp_le_u32_e64 s[4:5], s39, v9
	v_cndmask_b32_e64 v14, 0, -1, s[4:5]
	v_cmp_le_u32_e64 s[4:5], s38, v13
	v_cndmask_b32_e64 v13, 0, -1, s[4:5]
	v_cmp_eq_u32_e64 s[4:5], s39, v9
	v_cndmask_b32_e64 v9, v14, v13, s[4:5]
	v_add_co_u32_e64 v13, s[4:5], 2, v7
	v_subb_co_u32_e32 v6, vcc, v12, v6, vcc
	v_addc_co_u32_e64 v14, s[4:5], 0, v8, s[4:5]
	v_cmp_le_u32_e32 vcc, s39, v6
	v_add_co_u32_e64 v15, s[4:5], 1, v7
	v_cndmask_b32_e64 v12, 0, -1, vcc
	v_cmp_le_u32_e32 vcc, s38, v5
	v_addc_co_u32_e64 v16, s[4:5], 0, v8, s[4:5]
	v_cndmask_b32_e64 v5, 0, -1, vcc
	v_cmp_eq_u32_e32 vcc, s39, v6
	v_cmp_ne_u32_e64 s[4:5], 0, v9
	v_cndmask_b32_e32 v5, v12, v5, vcc
	v_cmp_ne_u32_e32 vcc, 0, v5
	v_cndmask_b32_e64 v6, v15, v13, s[4:5]
	v_cndmask_b32_e64 v9, v16, v14, s[4:5]
	v_cndmask_b32_e32 v6, v7, v6, vcc
	v_cndmask_b32_e32 v5, v8, v9, vcc
	v_xor_b32_e32 v6, v6, v3
	v_xor_b32_e32 v5, v5, v3
	v_sub_co_u32_e32 v6, vcc, v6, v3
	v_subb_co_u32_e32 v7, vcc, v5, v3, vcc
.LBB10_10:                              ;   in Loop: Header=BB10_4 Depth=1
	s_andn2_saveexec_b64 s[4:5], s[6:7]
	s_cbranch_execz .LBB10_12
; %bb.11:                               ;   in Loop: Header=BB10_4 Depth=1
	v_cvt_f32_u32_e32 v3, s28
	s_sub_i32 s6, 0, s28
	v_rcp_iflag_f32_e32 v3, v3
	v_mul_f32_e32 v3, 0x4f7ffffe, v3
	v_cvt_u32_f32_e32 v3, v3
	v_mul_lo_u32 v5, s6, v3
	v_mul_hi_u32 v5, v3, v5
	v_add_u32_e32 v3, v3, v5
	v_mul_hi_u32 v3, v4, v3
	v_mul_lo_u32 v5, v3, s28
	v_add_u32_e32 v6, 1, v3
	v_sub_u32_e32 v5, v4, v5
	v_subrev_u32_e32 v7, s28, v5
	v_cmp_le_u32_e32 vcc, s28, v5
	v_cndmask_b32_e32 v5, v5, v7, vcc
	v_cndmask_b32_e32 v3, v3, v6, vcc
	v_add_u32_e32 v6, 1, v3
	v_cmp_le_u32_e32 vcc, s28, v5
	v_cndmask_b32_e32 v6, v3, v6, vcc
	v_mov_b32_e32 v7, v2
.LBB10_12:                              ;   in Loop: Header=BB10_4 Depth=1
	s_or_b64 exec, exec, s[4:5]
	v_or_b32_e32 v3, s15, v7
	v_cmp_ne_u64_e32 vcc, 0, v[2:3]
                                        ; implicit-def: $vgpr8_vgpr9
	s_and_saveexec_b64 s[4:5], vcc
	s_xor_b64 s[6:7], exec, s[4:5]
	s_cbranch_execz .LBB10_14
; %bb.13:                               ;   in Loop: Header=BB10_4 Depth=1
	s_ashr_i32 s36, s15, 31
	s_add_u32 s4, s14, s36
	s_mov_b32 s37, s36
	s_addc_u32 s5, s15, s36
	s_xor_b64 s[38:39], s[4:5], s[36:37]
	v_cvt_f32_u32_e32 v3, s38
	v_cvt_f32_u32_e32 v5, s39
	s_sub_u32 s35, 0, s38
	s_subb_u32 s37, 0, s39
	v_mac_f32_e32 v3, 0x4f800000, v5
	v_rcp_f32_e32 v3, v3
	v_mul_f32_e32 v3, 0x5f7ffffc, v3
	v_mul_f32_e32 v5, 0x2f800000, v3
	v_trunc_f32_e32 v5, v5
	v_mac_f32_e32 v3, 0xcf800000, v5
	v_cvt_u32_f32_e32 v5, v5
	v_cvt_u32_f32_e32 v3, v3
	v_readfirstlane_b32 s40, v5
	v_readfirstlane_b32 s4, v3
	s_mul_i32 s5, s35, s40
	s_mul_hi_u32 s42, s35, s4
	s_mul_i32 s41, s37, s4
	s_add_i32 s5, s42, s5
	s_add_i32 s5, s5, s41
	s_mul_i32 s43, s35, s4
	s_mul_i32 s42, s4, s5
	s_mul_hi_u32 s44, s4, s43
	s_mul_hi_u32 s41, s4, s5
	s_add_u32 s42, s44, s42
	s_addc_u32 s41, 0, s41
	s_mul_hi_u32 s45, s40, s43
	s_mul_i32 s43, s40, s43
	s_add_u32 s42, s42, s43
	s_mul_hi_u32 s44, s40, s5
	s_addc_u32 s41, s41, s45
	s_addc_u32 s42, s44, 0
	s_mul_i32 s5, s40, s5
	s_add_u32 s5, s41, s5
	s_addc_u32 s41, 0, s42
	s_add_u32 s42, s4, s5
	s_cselect_b64 s[4:5], -1, 0
	s_cmp_lg_u64 s[4:5], 0
	s_addc_u32 s40, s40, s41
	s_mul_i32 s4, s35, s40
	s_mul_hi_u32 s5, s35, s42
	s_add_i32 s4, s5, s4
	s_mul_i32 s37, s37, s42
	s_add_i32 s4, s4, s37
	s_mul_i32 s35, s35, s42
	s_mul_hi_u32 s37, s40, s35
	s_mul_i32 s41, s40, s35
	s_mul_i32 s44, s42, s4
	s_mul_hi_u32 s35, s42, s35
	s_mul_hi_u32 s43, s42, s4
	s_add_u32 s35, s35, s44
	s_addc_u32 s43, 0, s43
	s_add_u32 s35, s35, s41
	s_mul_hi_u32 s5, s40, s4
	s_addc_u32 s35, s43, s37
	s_addc_u32 s5, s5, 0
	s_mul_i32 s4, s40, s4
	s_add_u32 s4, s35, s4
	s_addc_u32 s35, 0, s5
	s_add_u32 s37, s42, s4
	s_cselect_b64 s[4:5], -1, 0
	v_ashrrev_i32_e32 v3, 31, v7
	s_cmp_lg_u64 s[4:5], 0
	v_add_co_u32_e32 v5, vcc, v6, v3
	s_addc_u32 s35, s40, s35
	v_xor_b32_e32 v5, v5, v3
	v_addc_co_u32_e32 v9, vcc, v7, v3, vcc
	v_mad_u64_u32 v[7:8], s[4:5], v5, s35, 0
	v_mul_hi_u32 v12, v5, s37
	v_xor_b32_e32 v9, v9, v3
	v_xor_b32_e32 v3, s36, v3
	v_add_co_u32_e32 v14, vcc, v12, v7
	v_addc_co_u32_e32 v15, vcc, 0, v8, vcc
	v_mad_u64_u32 v[7:8], s[4:5], v9, s37, 0
	v_mad_u64_u32 v[12:13], s[4:5], v9, s35, 0
	v_add_co_u32_e32 v7, vcc, v14, v7
	v_addc_co_u32_e32 v7, vcc, v15, v8, vcc
	v_addc_co_u32_e32 v8, vcc, 0, v13, vcc
	v_add_co_u32_e32 v12, vcc, v7, v12
	v_addc_co_u32_e32 v7, vcc, 0, v8, vcc
	v_mul_lo_u32 v13, s39, v12
	v_mul_lo_u32 v14, s38, v7
	v_mad_u64_u32 v[7:8], s[4:5], s38, v12, 0
	v_add3_u32 v8, v8, v14, v13
	v_sub_u32_e32 v13, v9, v8
	v_mov_b32_e32 v14, s39
	v_sub_co_u32_e32 v5, vcc, v5, v7
	v_subb_co_u32_e64 v7, s[4:5], v13, v14, vcc
	v_subrev_co_u32_e64 v13, s[4:5], s38, v5
	v_subbrev_co_u32_e64 v7, s[4:5], 0, v7, s[4:5]
	v_cmp_le_u32_e64 s[4:5], s39, v7
	v_subb_co_u32_e32 v8, vcc, v9, v8, vcc
	v_cndmask_b32_e64 v14, 0, -1, s[4:5]
	v_cmp_le_u32_e64 s[4:5], s38, v13
	v_cmp_le_u32_e32 vcc, s39, v8
	v_cndmask_b32_e64 v13, 0, -1, s[4:5]
	v_cmp_eq_u32_e64 s[4:5], s39, v7
	v_cndmask_b32_e64 v9, 0, -1, vcc
	v_cmp_le_u32_e32 vcc, s38, v5
	v_cndmask_b32_e64 v7, v14, v13, s[4:5]
	v_cndmask_b32_e64 v5, 0, -1, vcc
	v_cmp_eq_u32_e32 vcc, s39, v8
	v_add_co_u32_e64 v13, s[4:5], 2, v12
	v_add_co_u32_e64 v14, s[4:5], 1, v12
	v_cndmask_b32_e32 v5, v9, v5, vcc
	v_cmp_ne_u32_e32 vcc, 0, v7
	v_cndmask_b32_e32 v7, v14, v13, vcc
	v_cmp_ne_u32_e32 vcc, 0, v5
	v_cndmask_b32_e32 v5, v12, v7, vcc
	v_xor_b32_e32 v5, v5, v3
	v_sub_co_u32_e32 v8, vcc, v5, v3
.LBB10_14:                              ;   in Loop: Header=BB10_4 Depth=1
	s_andn2_saveexec_b64 s[4:5], s[6:7]
	s_cbranch_execz .LBB10_16
; %bb.15:                               ;   in Loop: Header=BB10_4 Depth=1
	v_cvt_f32_u32_e32 v3, s14
	s_sub_i32 s6, 0, s14
	v_rcp_iflag_f32_e32 v3, v3
	v_mul_f32_e32 v3, 0x4f7ffffe, v3
	v_cvt_u32_f32_e32 v3, v3
	v_mul_lo_u32 v5, s6, v3
	v_mul_hi_u32 v5, v3, v5
	v_add_u32_e32 v3, v3, v5
	v_mul_hi_u32 v3, v6, v3
	v_mul_lo_u32 v5, v3, s14
	v_add_u32_e32 v7, 1, v3
	v_sub_u32_e32 v5, v6, v5
	v_subrev_u32_e32 v8, s14, v5
	v_cmp_le_u32_e32 vcc, s14, v5
	v_cndmask_b32_e32 v5, v5, v8, vcc
	v_cndmask_b32_e32 v3, v3, v7, vcc
	v_add_u32_e32 v7, 1, v3
	v_cmp_le_u32_e32 vcc, s14, v5
	v_cndmask_b32_e32 v8, v3, v7, vcc
.LBB10_16:                              ;   in Loop: Header=BB10_4 Depth=1
	s_or_b64 exec, exec, s[4:5]
	v_mul_lo_u32 v3, v8, s14
	v_mov_b32_e32 v7, 0
	v_mov_b32_e32 v9, 0
	v_sub_u32_e32 v5, v6, v3
	v_cmp_le_i32_e32 vcc, s18, v5
	s_and_saveexec_b64 s[4:5], vcc
	s_cbranch_execz .LBB10_18
; %bb.17:                               ;   in Loop: Header=BB10_4 Depth=1
	v_subrev_u32_e32 v3, s18, v5
	v_mul_hi_u32 v9, v3, v10
	v_mul_lo_u32 v12, v9, s27
	v_add_u32_e32 v13, 1, v9
	v_sub_u32_e32 v3, v3, v12
	v_cmp_le_u32_e32 vcc, s27, v3
	v_subrev_u32_e32 v12, s27, v3
	v_cndmask_b32_e32 v9, v9, v13, vcc
	v_cndmask_b32_e32 v3, v3, v12, vcc
	v_add_u32_e32 v12, 1, v9
	v_cmp_le_u32_e32 vcc, s27, v3
	v_cndmask_b32_e32 v3, v9, v12, vcc
	v_xor_b32_e32 v3, s51, v3
	v_subrev_u32_e32 v3, s51, v3
	v_add_u32_e32 v9, 1, v3
.LBB10_18:                              ;   in Loop: Header=BB10_4 Depth=1
	s_or_b64 exec, exec, s[4:5]
	v_mul_lo_u32 v3, v6, s28
	v_sub_u32_e32 v3, v4, v3
	v_cmp_le_i32_e32 vcc, s19, v3
	s_and_saveexec_b64 s[4:5], vcc
	s_cbranch_execz .LBB10_20
; %bb.19:                               ;   in Loop: Header=BB10_4 Depth=1
	v_subrev_u32_e32 v6, s19, v3
	v_mul_hi_u32 v7, v6, v11
	v_mul_lo_u32 v12, v7, s33
	v_add_u32_e32 v13, 1, v7
	v_sub_u32_e32 v6, v6, v12
	v_cmp_le_u32_e32 vcc, s33, v6
	v_subrev_u32_e32 v12, s33, v6
	v_cndmask_b32_e32 v7, v7, v13, vcc
	v_cndmask_b32_e32 v6, v6, v12, vcc
	v_add_u32_e32 v12, 1, v7
	v_cmp_le_u32_e32 vcc, s33, v6
	v_cndmask_b32_e32 v6, v7, v12, vcc
	v_xor_b32_e32 v6, s52, v6
	v_subrev_u32_e32 v6, s52, v6
	v_add_u32_e32 v7, 1, v6
.LBB10_20:                              ;   in Loop: Header=BB10_4 Depth=1
	s_or_b64 exec, exec, s[4:5]
	v_sub_u32_e32 v6, 0, v5
	v_max_i32_e32 v6, v5, v6
	v_mul_hi_u32 v12, v6, v10
	v_ashrrev_i32_e32 v5, 31, v5
	v_xor_b32_e32 v5, s51, v5
	v_mul_lo_u32 v13, v12, s27
	v_add_u32_e32 v14, 1, v12
	v_sub_u32_e32 v6, v6, v13
	v_cmp_le_u32_e32 vcc, s27, v6
	v_subrev_u32_e32 v13, s27, v6
	v_cndmask_b32_e32 v12, v12, v14, vcc
	v_cndmask_b32_e32 v6, v6, v13, vcc
	v_add_u32_e32 v13, 1, v12
	v_cmp_le_u32_e32 vcc, s27, v6
	v_cndmask_b32_e32 v6, v12, v13, vcc
	v_xor_b32_e32 v6, v6, v5
	v_sub_u32_e32 v5, v6, v5
	v_add_u32_e32 v5, 1, v5
	v_min_i32_e32 v12, s16, v5
	v_mov_b32_e32 v5, 0
	v_mov_b32_e32 v6, 0
	v_cmp_lt_i32_e32 vcc, v9, v12
	s_and_saveexec_b64 s[36:37], vcc
	s_cbranch_execz .LBB10_3
; %bb.21:                               ;   in Loop: Header=BB10_4 Depth=1
	v_sub_u32_e32 v5, 0, v3
	v_max_i32_e32 v5, v3, v5
	v_mul_hi_u32 v6, v5, v11
	v_mul_lo_u32 v4, v4, s12
	v_ashrrev_i32_e32 v3, 31, v3
	v_xor_b32_e32 v14, s52, v3
	v_mul_lo_u32 v13, v6, s33
	v_sub_u32_e32 v3, v0, v4
	v_add_u32_e32 v4, 1, v6
	v_mul_lo_u32 v16, s21, v7
	v_sub_u32_e32 v5, v5, v13
	v_cmp_le_u32_e32 vcc, s33, v5
	v_cndmask_b32_e32 v4, v6, v4, vcc
	v_subrev_u32_e32 v6, s33, v5
	v_cndmask_b32_e32 v5, v5, v6, vcc
	v_add_u32_e32 v6, 1, v4
	v_cmp_le_u32_e32 vcc, s33, v5
	v_ashrrev_i32_e32 v5, 31, v8
	v_cndmask_b32_e32 v4, v4, v6, vcc
	v_mul_lo_u32 v13, s46, v8
	v_mul_lo_u32 v15, s47, v5
	v_mad_u64_u32 v[5:6], s[4:5], s47, v8, 0
	v_mov_b32_e32 v8, s11
	v_xor_b32_e32 v4, v4, v14
	v_add3_u32 v6, v6, v15, v13
	v_lshlrev_b64 v[5:6], 3, v[5:6]
	v_sub_u32_e32 v4, v4, v14
	v_add_co_u32_e32 v13, vcc, s10, v5
	v_addc_co_u32_e32 v8, vcc, v8, v6, vcc
	v_ashrrev_i64 v[5:6], 29, v[2:3]
	v_add_u32_e32 v4, 1, v4
	v_add_co_u32_e32 v3, vcc, v13, v5
	v_mul_lo_u32 v13, s17, v9
	v_min_i32_e32 v4, s17, v4
	v_addc_co_u32_e32 v8, vcc, v8, v6, vcc
	v_mov_b32_e32 v5, 0
	v_cmp_lt_i32_e64 s[4:5], v7, v4
	v_add_u32_e32 v14, s53, v16
	v_add_u32_e32 v15, s54, v16
	v_sub_u32_e32 v16, s23, v16
	v_mov_b32_e32 v6, 0
	s_mov_b64 s[38:39], 0
	s_branch .LBB10_24
.LBB10_22:                              ;   in Loop: Header=BB10_24 Depth=2
	s_or_b64 exec, exec, s[42:43]
.LBB10_23:                              ;   in Loop: Header=BB10_24 Depth=2
	s_or_b64 exec, exec, s[40:41]
	v_add_u32_e32 v9, 1, v9
	v_cmp_ge_i32_e32 vcc, v9, v12
	s_or_b64 s[38:39], vcc, s[38:39]
	v_add_u32_e32 v13, s17, v13
	s_andn2_b64 exec, exec, s[38:39]
	s_cbranch_execz .LBB10_2
.LBB10_24:                              ;   Parent Loop BB10_4 Depth=1
                                        ; =>  This Loop Header: Depth=2
                                        ;       Child Loop BB10_27 Depth 3
	s_and_saveexec_b64 s[40:41], s[4:5]
	s_cbranch_execz .LBB10_23
; %bb.25:                               ;   in Loop: Header=BB10_24 Depth=2
	v_mul_lo_u32 v17, v9, s20
	s_mov_b64 s[42:43], 0
	v_mov_b32_e32 v21, v14
	v_mov_b32_e32 v22, v7
	v_subrev_u32_e32 v17, s22, v17
	v_add_u32_e32 v18, s18, v17
	v_min_i32_e32 v18, s48, v18
	v_max_i32_e32 v19, 0, v17
	v_min_i32_e32 v20, s14, v18
	v_sub_u32_e32 v17, v18, v17
	v_cmp_gt_i32_e64 s[6:7], v20, v19
	v_sub_u32_e32 v18, v20, v19
	v_mov_b32_e32 v19, v16
	v_mov_b32_e32 v20, v15
	s_branch .LBB10_27
.LBB10_26:                              ;   in Loop: Header=BB10_27 Depth=3
	s_or_b64 exec, exec, s[44:45]
	v_add_u32_e32 v22, 1, v22
	v_cmp_ge_i32_e32 vcc, v22, v4
	v_add_u32_e32 v21, s21, v21
	v_add_u32_e32 v20, s21, v20
	s_or_b64 s[42:43], vcc, s[42:43]
	v_subrev_u32_e32 v19, s21, v19
	s_andn2_b64 exec, exec, s[42:43]
	s_cbranch_execz .LBB10_22
.LBB10_27:                              ;   Parent Loop BB10_4 Depth=1
                                        ;     Parent Loop BB10_24 Depth=2
                                        ; =>    This Inner Loop Header: Depth=3
	v_add_u32_e32 v24, s19, v21
	v_mov_b32_e32 v25, s28
	v_max_i32_e32 v23, 0, v21
	v_min3_i32 v24, v24, s49, v25
	v_cmp_gt_i32_e32 vcc, v24, v23
	s_and_b64 s[56:57], s[6:7], vcc
	s_and_saveexec_b64 s[44:45], s[56:57]
	s_cbranch_execz .LBB10_26
; %bb.28:                               ;   in Loop: Header=BB10_27 Depth=3
	v_add_u32_e32 v25, v13, v22
	v_ashrrev_i32_e32 v27, 31, v25
	v_mul_lo_u32 v28, s13, v25
	v_mad_u64_u32 v[25:26], s[56:57], s12, v25, 0
	v_mul_lo_u32 v27, s12, v27
	v_sub_u32_e32 v23, v24, v23
	v_mul_lo_u32 v23, v23, v18
	v_add3_u32 v26, v26, v27, v28
	v_lshlrev_b64 v[25:26], 3, v[25:26]
	v_min_i32_e32 v27, s49, v20
	v_add_co_u32_e32 v25, vcc, v3, v25
	v_addc_co_u32_e32 v26, vcc, v8, v26, vcc
	global_load_dwordx2 v[25:26], v[25:26], off
	v_add_u32_e32 v24, v27, v19
	v_mul_lo_u32 v24, v24, v17
	v_mov_b32_e32 v27, s26
	v_cndmask_b32_e64 v23, v23, v24, s[0:1]
	v_cndmask_b32_e64 v23, v23, v27, s[2:3]
	v_cvt_f64_i32_e32 v[23:24], v23
	s_waitcnt vmcnt(0)
	v_div_scale_f64 v[27:28], s[56:57], v[23:24], v[23:24], v[25:26]
	v_div_scale_f64 v[33:34], vcc, v[25:26], v[23:24], v[25:26]
	v_rcp_f64_e32 v[29:30], v[27:28]
	v_fma_f64 v[31:32], -v[27:28], v[29:30], 1.0
	v_fma_f64 v[29:30], v[29:30], v[31:32], v[29:30]
	v_fma_f64 v[31:32], -v[27:28], v[29:30], 1.0
	v_fma_f64 v[29:30], v[29:30], v[31:32], v[29:30]
	v_mul_f64 v[31:32], v[33:34], v[29:30]
	v_fma_f64 v[27:28], -v[27:28], v[31:32], v[33:34]
	v_div_fmas_f64 v[27:28], v[27:28], v[29:30], v[31:32]
	v_div_fixup_f64 v[23:24], v[27:28], v[23:24], v[25:26]
	v_add_f64 v[5:6], v[5:6], v[23:24]
	s_branch .LBB10_26
.LBB10_29:
	s_endpgm
	.section	.rodata,"a",@progbits
	.p2align	6, 0x0
	.amdhsa_kernel _ZN2at6native12_GLOBAL__N_139avg_pool2d_backward_out_cuda_frame_nhwcIddlEEvT1_PKT_llliiiiiiiiPS4_ibb
		.amdhsa_group_segment_fixed_size 0
		.amdhsa_private_segment_fixed_size 0
		.amdhsa_kernarg_size 344
		.amdhsa_user_sgpr_count 6
		.amdhsa_user_sgpr_private_segment_buffer 1
		.amdhsa_user_sgpr_dispatch_ptr 0
		.amdhsa_user_sgpr_queue_ptr 0
		.amdhsa_user_sgpr_kernarg_segment_ptr 1
		.amdhsa_user_sgpr_dispatch_id 0
		.amdhsa_user_sgpr_flat_scratch_init 0
		.amdhsa_user_sgpr_private_segment_size 0
		.amdhsa_uses_dynamic_stack 0
		.amdhsa_system_sgpr_private_segment_wavefront_offset 0
		.amdhsa_system_sgpr_workgroup_id_x 1
		.amdhsa_system_sgpr_workgroup_id_y 0
		.amdhsa_system_sgpr_workgroup_id_z 0
		.amdhsa_system_sgpr_workgroup_info 0
		.amdhsa_system_vgpr_workitem_id 0
		.amdhsa_next_free_vgpr 35
		.amdhsa_next_free_sgpr 58
		.amdhsa_reserve_vcc 1
		.amdhsa_reserve_flat_scratch 0
		.amdhsa_float_round_mode_32 0
		.amdhsa_float_round_mode_16_64 0
		.amdhsa_float_denorm_mode_32 3
		.amdhsa_float_denorm_mode_16_64 3
		.amdhsa_dx10_clamp 1
		.amdhsa_ieee_mode 1
		.amdhsa_fp16_overflow 0
		.amdhsa_exception_fp_ieee_invalid_op 0
		.amdhsa_exception_fp_denorm_src 0
		.amdhsa_exception_fp_ieee_div_zero 0
		.amdhsa_exception_fp_ieee_overflow 0
		.amdhsa_exception_fp_ieee_underflow 0
		.amdhsa_exception_fp_ieee_inexact 0
		.amdhsa_exception_int_div_zero 0
	.end_amdhsa_kernel
	.section	.text._ZN2at6native12_GLOBAL__N_139avg_pool2d_backward_out_cuda_frame_nhwcIddlEEvT1_PKT_llliiiiiiiiPS4_ibb,"axG",@progbits,_ZN2at6native12_GLOBAL__N_139avg_pool2d_backward_out_cuda_frame_nhwcIddlEEvT1_PKT_llliiiiiiiiPS4_ibb,comdat
.Lfunc_end10:
	.size	_ZN2at6native12_GLOBAL__N_139avg_pool2d_backward_out_cuda_frame_nhwcIddlEEvT1_PKT_llliiiiiiiiPS4_ibb, .Lfunc_end10-_ZN2at6native12_GLOBAL__N_139avg_pool2d_backward_out_cuda_frame_nhwcIddlEEvT1_PKT_llliiiiiiiiPS4_ibb
                                        ; -- End function
	.set _ZN2at6native12_GLOBAL__N_139avg_pool2d_backward_out_cuda_frame_nhwcIddlEEvT1_PKT_llliiiiiiiiPS4_ibb.num_vgpr, 35
	.set _ZN2at6native12_GLOBAL__N_139avg_pool2d_backward_out_cuda_frame_nhwcIddlEEvT1_PKT_llliiiiiiiiPS4_ibb.num_agpr, 0
	.set _ZN2at6native12_GLOBAL__N_139avg_pool2d_backward_out_cuda_frame_nhwcIddlEEvT1_PKT_llliiiiiiiiPS4_ibb.numbered_sgpr, 58
	.set _ZN2at6native12_GLOBAL__N_139avg_pool2d_backward_out_cuda_frame_nhwcIddlEEvT1_PKT_llliiiiiiiiPS4_ibb.num_named_barrier, 0
	.set _ZN2at6native12_GLOBAL__N_139avg_pool2d_backward_out_cuda_frame_nhwcIddlEEvT1_PKT_llliiiiiiiiPS4_ibb.private_seg_size, 0
	.set _ZN2at6native12_GLOBAL__N_139avg_pool2d_backward_out_cuda_frame_nhwcIddlEEvT1_PKT_llliiiiiiiiPS4_ibb.uses_vcc, 1
	.set _ZN2at6native12_GLOBAL__N_139avg_pool2d_backward_out_cuda_frame_nhwcIddlEEvT1_PKT_llliiiiiiiiPS4_ibb.uses_flat_scratch, 0
	.set _ZN2at6native12_GLOBAL__N_139avg_pool2d_backward_out_cuda_frame_nhwcIddlEEvT1_PKT_llliiiiiiiiPS4_ibb.has_dyn_sized_stack, 0
	.set _ZN2at6native12_GLOBAL__N_139avg_pool2d_backward_out_cuda_frame_nhwcIddlEEvT1_PKT_llliiiiiiiiPS4_ibb.has_recursion, 0
	.set _ZN2at6native12_GLOBAL__N_139avg_pool2d_backward_out_cuda_frame_nhwcIddlEEvT1_PKT_llliiiiiiiiPS4_ibb.has_indirect_call, 0
	.section	.AMDGPU.csdata,"",@progbits
; Kernel info:
; codeLenInByte = 3476
; TotalNumSgprs: 62
; NumVgprs: 35
; ScratchSize: 0
; MemoryBound: 0
; FloatMode: 240
; IeeeMode: 1
; LDSByteSize: 0 bytes/workgroup (compile time only)
; SGPRBlocks: 7
; VGPRBlocks: 8
; NumSGPRsForWavesPerEU: 62
; NumVGPRsForWavesPerEU: 35
; Occupancy: 7
; WaveLimiterHint : 0
; COMPUTE_PGM_RSRC2:SCRATCH_EN: 0
; COMPUTE_PGM_RSRC2:USER_SGPR: 6
; COMPUTE_PGM_RSRC2:TRAP_HANDLER: 0
; COMPUTE_PGM_RSRC2:TGID_X_EN: 1
; COMPUTE_PGM_RSRC2:TGID_Y_EN: 0
; COMPUTE_PGM_RSRC2:TGID_Z_EN: 0
; COMPUTE_PGM_RSRC2:TIDIG_COMP_CNT: 0
	.section	.text._ZN2at6native12_GLOBAL__N_134avg_pool2d_backward_out_cuda_frameIddlEEvT1_PKT_llllliiiiiiPS4_ibb,"axG",@progbits,_ZN2at6native12_GLOBAL__N_134avg_pool2d_backward_out_cuda_frameIddlEEvT1_PKT_llllliiiiiiPS4_ibb,comdat
	.globl	_ZN2at6native12_GLOBAL__N_134avg_pool2d_backward_out_cuda_frameIddlEEvT1_PKT_llllliiiiiiPS4_ibb ; -- Begin function _ZN2at6native12_GLOBAL__N_134avg_pool2d_backward_out_cuda_frameIddlEEvT1_PKT_llllliiiiiiPS4_ibb
	.p2align	8
	.type	_ZN2at6native12_GLOBAL__N_134avg_pool2d_backward_out_cuda_frameIddlEEvT1_PKT_llllliiiiiiPS4_ibb,@function
_ZN2at6native12_GLOBAL__N_134avg_pool2d_backward_out_cuda_frameIddlEEvT1_PKT_llllliiiiiiPS4_ibb: ; @_ZN2at6native12_GLOBAL__N_134avg_pool2d_backward_out_cuda_frameIddlEEvT1_PKT_llllliiiiiiPS4_ibb
; %bb.0:
	s_load_dword s2, s[4:5], 0x6c
	s_load_dwordx8 s[8:15], s[4:5], 0x0
	s_add_u32 s0, s4, 0x60
	v_mov_b32_e32 v2, 0
	s_addc_u32 s1, s5, 0
	s_waitcnt lgkmcnt(0)
	s_and_b32 s7, s2, 0xffff
	v_mov_b32_e32 v1, v2
	v_mov_b32_e32 v3, s6
	v_mad_u64_u32 v[0:1], s[2:3], s7, v3, v[0:1]
	v_cmp_gt_i64_e32 vcc, s[8:9], v[0:1]
	s_and_saveexec_b64 s[2:3], vcc
	s_cbranch_execz .LBB11_29
; %bb.1:
	s_load_dwordx2 s[34:35], s[4:5], 0x58
	s_load_dword s2, s[4:5], 0x5c
	s_load_dwordx8 s[16:23], s[4:5], 0x38
	s_load_dword s6, s[0:1], 0x0
	s_load_dwordx8 s[24:31], s[4:5], 0x20
	s_waitcnt lgkmcnt(0)
	s_bitcmp1_b32 s35, 0
	s_cselect_b64 s[0:1], -1, 0
	s_bitcmp1_b32 s2, 8
	s_cselect_b64 s[2:3], -1, 0
	s_abs_i32 s33, s18
	v_cvt_f32_u32_e32 v3, s33
	s_abs_i32 s35, s19
	v_cvt_f32_u32_e32 v4, s35
	s_sub_i32 s4, 0, s33
	v_rcp_iflag_f32_e32 v3, v3
	s_mul_i32 s52, s6, s7
	v_rcp_iflag_f32_e32 v4, v4
	s_add_i32 s53, s20, s14
	v_mul_f32_e32 v3, 0x4f7ffffe, v3
	v_cvt_u32_f32_e32 v3, v3
	v_mul_f32_e32 v4, 0x4f7ffffe, v4
	v_cvt_u32_f32_e32 v4, v4
	s_add_i32 s54, s21, s24
	v_mul_lo_u32 v5, s4, v3
	s_sub_i32 s4, 0, s35
	v_mul_lo_u32 v6, s4, v4
	s_ashr_i32 s55, s18, 31
	v_mul_hi_u32 v5, v3, v5
	s_ashr_i32 s56, s19, 31
	v_mul_hi_u32 v6, v4, v6
	s_lshl_b64 s[30:31], s[26:27], 3
	v_add_u32_e32 v13, v3, v5
	s_lshl_b64 s[36:37], s[28:29], 3
	v_add_u32_e32 v14, v4, v6
	s_sub_i32 s27, 0, s21
	s_sub_i32 s57, s17, s21
	s_mov_b64 s[38:39], 0
	s_ashr_i32 s40, s25, 31
	s_branch .LBB11_4
.LBB11_2:                               ;   in Loop: Header=BB11_4 Depth=1
	s_or_b64 exec, exec, s[44:45]
.LBB11_3:                               ;   in Loop: Header=BB11_4 Depth=1
	s_or_b64 exec, exec, s[42:43]
	v_lshlrev_b64 v[3:4], 3, v[0:1]
	v_add_co_u32_e32 v0, vcc, s52, v0
	v_addc_co_u32_e32 v1, vcc, 0, v1, vcc
	v_cmp_le_i64_e32 vcc, s[8:9], v[0:1]
	v_mov_b32_e32 v5, s23
	v_add_co_u32_e64 v3, s[4:5], s22, v3
	v_addc_co_u32_e64 v4, s[4:5], v5, v4, s[4:5]
	s_or_b64 s[38:39], vcc, s[38:39]
	global_store_dwordx2 v[3:4], v[7:8], off
	s_andn2_b64 exec, exec, s[38:39]
	s_cbranch_execz .LBB11_29
.LBB11_4:                               ; =>This Loop Header: Depth=1
                                        ;     Child Loop BB11_24 Depth 2
                                        ;       Child Loop BB11_27 Depth 3
	v_or_b32_e32 v3, s25, v1
	v_cmp_ne_u64_e32 vcc, 0, v[2:3]
                                        ; implicit-def: $vgpr4_vgpr5
	s_and_saveexec_b64 s[4:5], vcc
	s_xor_b64 s[6:7], exec, s[4:5]
	s_cbranch_execz .LBB11_6
; %bb.5:                                ;   in Loop: Header=BB11_4 Depth=1
	s_add_u32 s4, s24, s40
	s_mov_b32 s41, s40
	s_addc_u32 s5, s25, s40
	s_xor_b64 s[42:43], s[4:5], s[40:41]
	v_cvt_f32_u32_e32 v3, s42
	v_cvt_f32_u32_e32 v4, s43
	s_sub_u32 s41, 0, s42
	s_subb_u32 s44, 0, s43
	v_ashrrev_i32_e32 v7, 31, v1
	v_mac_f32_e32 v3, 0x4f800000, v4
	v_rcp_f32_e32 v3, v3
	v_mul_f32_e32 v3, 0x5f7ffffc, v3
	v_mul_f32_e32 v4, 0x2f800000, v3
	v_trunc_f32_e32 v4, v4
	v_mac_f32_e32 v3, 0xcf800000, v4
	v_cvt_u32_f32_e32 v4, v4
	v_cvt_u32_f32_e32 v3, v3
	v_readfirstlane_b32 s45, v4
	v_readfirstlane_b32 s4, v3
	s_mul_i32 s5, s41, s45
	s_mul_hi_u32 s47, s41, s4
	s_mul_i32 s46, s44, s4
	s_add_i32 s5, s47, s5
	s_add_i32 s5, s5, s46
	s_mul_i32 s48, s41, s4
	s_mul_i32 s47, s4, s5
	s_mul_hi_u32 s49, s4, s48
	s_mul_hi_u32 s46, s4, s5
	s_add_u32 s47, s49, s47
	s_addc_u32 s46, 0, s46
	s_mul_hi_u32 s50, s45, s48
	s_mul_i32 s48, s45, s48
	s_add_u32 s47, s47, s48
	s_mul_hi_u32 s49, s45, s5
	s_addc_u32 s46, s46, s50
	s_addc_u32 s47, s49, 0
	s_mul_i32 s5, s45, s5
	s_add_u32 s5, s46, s5
	s_addc_u32 s46, 0, s47
	s_add_u32 s47, s4, s5
	s_cselect_b64 s[4:5], -1, 0
	s_cmp_lg_u64 s[4:5], 0
	s_addc_u32 s45, s45, s46
	s_mul_i32 s4, s41, s45
	s_mul_hi_u32 s5, s41, s47
	s_add_i32 s4, s5, s4
	s_mul_i32 s44, s44, s47
	s_add_i32 s4, s4, s44
	s_mul_i32 s41, s41, s47
	s_mul_hi_u32 s44, s45, s41
	s_mul_i32 s46, s45, s41
	s_mul_i32 s49, s47, s4
	s_mul_hi_u32 s41, s47, s41
	s_mul_hi_u32 s48, s47, s4
	s_add_u32 s41, s41, s49
	s_addc_u32 s48, 0, s48
	s_add_u32 s41, s41, s46
	s_mul_hi_u32 s5, s45, s4
	s_addc_u32 s41, s48, s44
	s_addc_u32 s5, s5, 0
	s_mul_i32 s4, s45, s4
	s_add_u32 s4, s41, s4
	s_addc_u32 s41, 0, s5
	s_add_u32 s44, s47, s4
	s_cselect_b64 s[4:5], -1, 0
	s_cmp_lg_u64 s[4:5], 0
	v_add_co_u32_e32 v3, vcc, v0, v7
	s_addc_u32 s41, s45, s41
	v_xor_b32_e32 v8, v3, v7
	v_mad_u64_u32 v[3:4], s[4:5], v8, s41, 0
	v_mul_hi_u32 v6, v8, s44
	v_addc_co_u32_e32 v5, vcc, v1, v7, vcc
	v_xor_b32_e32 v9, v5, v7
	v_add_co_u32_e32 v10, vcc, v6, v3
	v_addc_co_u32_e32 v11, vcc, 0, v4, vcc
	v_mad_u64_u32 v[3:4], s[4:5], v9, s44, 0
	v_mad_u64_u32 v[5:6], s[4:5], v9, s41, 0
	v_add_co_u32_e32 v3, vcc, v10, v3
	v_addc_co_u32_e32 v3, vcc, v11, v4, vcc
	v_addc_co_u32_e32 v4, vcc, 0, v6, vcc
	v_add_co_u32_e32 v5, vcc, v3, v5
	v_addc_co_u32_e32 v6, vcc, 0, v4, vcc
	v_mul_lo_u32 v10, s43, v5
	v_mul_lo_u32 v11, s42, v6
	v_mad_u64_u32 v[3:4], s[4:5], s42, v5, 0
	v_add3_u32 v4, v4, v11, v10
	v_sub_u32_e32 v10, v9, v4
	v_mov_b32_e32 v11, s43
	v_sub_co_u32_e32 v3, vcc, v8, v3
	v_subb_co_u32_e64 v8, s[4:5], v10, v11, vcc
	v_subrev_co_u32_e64 v10, s[4:5], s42, v3
	v_subbrev_co_u32_e64 v8, s[4:5], 0, v8, s[4:5]
	v_cmp_le_u32_e64 s[4:5], s43, v8
	v_cndmask_b32_e64 v11, 0, -1, s[4:5]
	v_cmp_le_u32_e64 s[4:5], s42, v10
	v_cndmask_b32_e64 v10, 0, -1, s[4:5]
	v_cmp_eq_u32_e64 s[4:5], s43, v8
	v_cndmask_b32_e64 v8, v11, v10, s[4:5]
	v_add_co_u32_e64 v10, s[4:5], 2, v5
	v_subb_co_u32_e32 v4, vcc, v9, v4, vcc
	v_addc_co_u32_e64 v11, s[4:5], 0, v6, s[4:5]
	v_cmp_le_u32_e32 vcc, s43, v4
	v_add_co_u32_e64 v12, s[4:5], 1, v5
	v_cndmask_b32_e64 v9, 0, -1, vcc
	v_cmp_le_u32_e32 vcc, s42, v3
	v_addc_co_u32_e64 v15, s[4:5], 0, v6, s[4:5]
	v_cndmask_b32_e64 v3, 0, -1, vcc
	v_cmp_eq_u32_e32 vcc, s43, v4
	v_cmp_ne_u32_e64 s[4:5], 0, v8
	v_cndmask_b32_e32 v3, v9, v3, vcc
	v_cmp_ne_u32_e32 vcc, 0, v3
	v_cndmask_b32_e64 v4, v12, v10, s[4:5]
	v_cndmask_b32_e64 v8, v15, v11, s[4:5]
	v_cndmask_b32_e32 v4, v5, v4, vcc
	v_xor_b32_e32 v5, s40, v7
	v_cndmask_b32_e32 v3, v6, v8, vcc
	v_xor_b32_e32 v4, v4, v5
	v_xor_b32_e32 v3, v3, v5
	v_sub_co_u32_e32 v4, vcc, v4, v5
	v_subb_co_u32_e32 v5, vcc, v3, v5, vcc
.LBB11_6:                               ;   in Loop: Header=BB11_4 Depth=1
	s_andn2_saveexec_b64 s[4:5], s[6:7]
	s_cbranch_execz .LBB11_8
; %bb.7:                                ;   in Loop: Header=BB11_4 Depth=1
	v_cvt_f32_u32_e32 v3, s24
	s_sub_i32 s6, 0, s24
	v_rcp_iflag_f32_e32 v3, v3
	v_mul_f32_e32 v3, 0x4f7ffffe, v3
	v_cvt_u32_f32_e32 v3, v3
	v_mul_lo_u32 v4, s6, v3
	v_mul_hi_u32 v4, v3, v4
	v_add_u32_e32 v3, v3, v4
	v_mul_hi_u32 v3, v0, v3
	v_mul_lo_u32 v4, v3, s24
	v_add_u32_e32 v5, 1, v3
	v_sub_u32_e32 v4, v0, v4
	v_subrev_u32_e32 v6, s24, v4
	v_cmp_le_u32_e32 vcc, s24, v4
	v_cndmask_b32_e32 v4, v4, v6, vcc
	v_cndmask_b32_e32 v3, v3, v5, vcc
	v_add_u32_e32 v5, 1, v3
	v_cmp_le_u32_e32 vcc, s24, v4
	v_cndmask_b32_e32 v4, v3, v5, vcc
	v_mov_b32_e32 v5, v2
.LBB11_8:                               ;   in Loop: Header=BB11_4 Depth=1
	s_or_b64 exec, exec, s[4:5]
	v_or_b32_e32 v3, s15, v5
	v_cmp_ne_u64_e32 vcc, 0, v[2:3]
                                        ; implicit-def: $vgpr6_vgpr7
	s_and_saveexec_b64 s[4:5], vcc
	s_xor_b64 s[6:7], exec, s[4:5]
	s_cbranch_execz .LBB11_10
; %bb.9:                                ;   in Loop: Header=BB11_4 Depth=1
	s_ashr_i32 s42, s15, 31
	s_add_u32 s4, s14, s42
	s_mov_b32 s43, s42
	s_addc_u32 s5, s15, s42
	s_xor_b64 s[44:45], s[4:5], s[42:43]
	v_cvt_f32_u32_e32 v3, s44
	v_cvt_f32_u32_e32 v6, s45
	s_sub_u32 s41, 0, s44
	s_subb_u32 s43, 0, s45
	v_mac_f32_e32 v3, 0x4f800000, v6
	v_rcp_f32_e32 v3, v3
	v_mul_f32_e32 v3, 0x5f7ffffc, v3
	v_mul_f32_e32 v6, 0x2f800000, v3
	v_trunc_f32_e32 v6, v6
	v_mac_f32_e32 v3, 0xcf800000, v6
	v_cvt_u32_f32_e32 v6, v6
	v_cvt_u32_f32_e32 v3, v3
	v_readfirstlane_b32 s46, v6
	v_readfirstlane_b32 s4, v3
	s_mul_i32 s5, s41, s46
	s_mul_hi_u32 s48, s41, s4
	s_mul_i32 s47, s43, s4
	s_add_i32 s5, s48, s5
	s_add_i32 s5, s5, s47
	s_mul_i32 s49, s41, s4
	s_mul_i32 s48, s4, s5
	s_mul_hi_u32 s50, s4, s49
	s_mul_hi_u32 s47, s4, s5
	s_add_u32 s48, s50, s48
	s_addc_u32 s47, 0, s47
	s_mul_hi_u32 s51, s46, s49
	s_mul_i32 s49, s46, s49
	s_add_u32 s48, s48, s49
	s_mul_hi_u32 s50, s46, s5
	s_addc_u32 s47, s47, s51
	s_addc_u32 s48, s50, 0
	s_mul_i32 s5, s46, s5
	s_add_u32 s5, s47, s5
	s_addc_u32 s47, 0, s48
	s_add_u32 s48, s4, s5
	s_cselect_b64 s[4:5], -1, 0
	s_cmp_lg_u64 s[4:5], 0
	s_addc_u32 s46, s46, s47
	s_mul_i32 s4, s41, s46
	s_mul_hi_u32 s5, s41, s48
	s_add_i32 s4, s5, s4
	s_mul_i32 s43, s43, s48
	s_add_i32 s4, s4, s43
	s_mul_i32 s41, s41, s48
	s_mul_hi_u32 s43, s46, s41
	s_mul_i32 s47, s46, s41
	s_mul_i32 s50, s48, s4
	s_mul_hi_u32 s41, s48, s41
	s_mul_hi_u32 s49, s48, s4
	s_add_u32 s41, s41, s50
	s_addc_u32 s49, 0, s49
	s_add_u32 s41, s41, s47
	s_mul_hi_u32 s5, s46, s4
	s_addc_u32 s41, s49, s43
	s_addc_u32 s5, s5, 0
	s_mul_i32 s4, s46, s4
	s_add_u32 s4, s41, s4
	s_addc_u32 s41, 0, s5
	s_add_u32 s43, s48, s4
	s_cselect_b64 s[4:5], -1, 0
	v_ashrrev_i32_e32 v3, 31, v5
	s_cmp_lg_u64 s[4:5], 0
	v_add_co_u32_e32 v6, vcc, v4, v3
	s_addc_u32 s41, s46, s41
	v_xor_b32_e32 v9, v6, v3
	v_addc_co_u32_e32 v7, vcc, v5, v3, vcc
	v_mad_u64_u32 v[5:6], s[4:5], v9, s41, 0
	v_mul_hi_u32 v8, v9, s43
	v_xor_b32_e32 v10, v7, v3
	v_xor_b32_e32 v3, s42, v3
	v_add_co_u32_e32 v11, vcc, v8, v5
	v_addc_co_u32_e32 v12, vcc, 0, v6, vcc
	v_mad_u64_u32 v[5:6], s[4:5], v10, s43, 0
	v_mad_u64_u32 v[7:8], s[4:5], v10, s41, 0
	v_add_co_u32_e32 v5, vcc, v11, v5
	v_addc_co_u32_e32 v5, vcc, v12, v6, vcc
	v_addc_co_u32_e32 v6, vcc, 0, v8, vcc
	v_add_co_u32_e32 v7, vcc, v5, v7
	v_addc_co_u32_e32 v8, vcc, 0, v6, vcc
	v_mul_lo_u32 v11, s45, v7
	v_mul_lo_u32 v12, s44, v8
	v_mad_u64_u32 v[5:6], s[4:5], s44, v7, 0
	v_add3_u32 v6, v6, v12, v11
	v_sub_u32_e32 v11, v10, v6
	v_mov_b32_e32 v12, s45
	v_sub_co_u32_e32 v5, vcc, v9, v5
	v_subb_co_u32_e64 v9, s[4:5], v11, v12, vcc
	v_subrev_co_u32_e64 v11, s[4:5], s44, v5
	v_subbrev_co_u32_e64 v9, s[4:5], 0, v9, s[4:5]
	v_cmp_le_u32_e64 s[4:5], s45, v9
	v_cndmask_b32_e64 v12, 0, -1, s[4:5]
	v_cmp_le_u32_e64 s[4:5], s44, v11
	v_cndmask_b32_e64 v11, 0, -1, s[4:5]
	v_cmp_eq_u32_e64 s[4:5], s45, v9
	v_cndmask_b32_e64 v9, v12, v11, s[4:5]
	v_add_co_u32_e64 v11, s[4:5], 2, v7
	v_subb_co_u32_e32 v6, vcc, v10, v6, vcc
	v_addc_co_u32_e64 v12, s[4:5], 0, v8, s[4:5]
	v_cmp_le_u32_e32 vcc, s45, v6
	v_add_co_u32_e64 v15, s[4:5], 1, v7
	v_cndmask_b32_e64 v10, 0, -1, vcc
	v_cmp_le_u32_e32 vcc, s44, v5
	v_addc_co_u32_e64 v16, s[4:5], 0, v8, s[4:5]
	v_cndmask_b32_e64 v5, 0, -1, vcc
	v_cmp_eq_u32_e32 vcc, s45, v6
	v_cmp_ne_u32_e64 s[4:5], 0, v9
	v_cndmask_b32_e32 v5, v10, v5, vcc
	v_cmp_ne_u32_e32 vcc, 0, v5
	v_cndmask_b32_e64 v6, v15, v11, s[4:5]
	v_cndmask_b32_e64 v9, v16, v12, s[4:5]
	v_cndmask_b32_e32 v6, v7, v6, vcc
	v_cndmask_b32_e32 v5, v8, v9, vcc
	v_xor_b32_e32 v6, v6, v3
	v_xor_b32_e32 v5, v5, v3
	v_sub_co_u32_e32 v6, vcc, v6, v3
	v_subb_co_u32_e32 v7, vcc, v5, v3, vcc
.LBB11_10:                              ;   in Loop: Header=BB11_4 Depth=1
	s_andn2_saveexec_b64 s[4:5], s[6:7]
	s_cbranch_execz .LBB11_12
; %bb.11:                               ;   in Loop: Header=BB11_4 Depth=1
	v_cvt_f32_u32_e32 v3, s14
	s_sub_i32 s6, 0, s14
	v_rcp_iflag_f32_e32 v3, v3
	v_mul_f32_e32 v3, 0x4f7ffffe, v3
	v_cvt_u32_f32_e32 v3, v3
	v_mul_lo_u32 v5, s6, v3
	v_mul_hi_u32 v5, v3, v5
	v_add_u32_e32 v3, v3, v5
	v_mul_hi_u32 v3, v4, v3
	v_mul_lo_u32 v5, v3, s14
	v_add_u32_e32 v6, 1, v3
	v_sub_u32_e32 v5, v4, v5
	v_subrev_u32_e32 v7, s14, v5
	v_cmp_le_u32_e32 vcc, s14, v5
	v_cndmask_b32_e32 v5, v5, v7, vcc
	v_cndmask_b32_e32 v3, v3, v6, vcc
	v_add_u32_e32 v6, 1, v3
	v_cmp_le_u32_e32 vcc, s14, v5
	v_cndmask_b32_e32 v6, v3, v6, vcc
	v_mov_b32_e32 v7, v2
.LBB11_12:                              ;   in Loop: Header=BB11_4 Depth=1
	s_or_b64 exec, exec, s[4:5]
	v_or_b32_e32 v3, s13, v7
	v_cmp_ne_u64_e32 vcc, 0, v[2:3]
                                        ; implicit-def: $vgpr9_vgpr10
	s_and_saveexec_b64 s[4:5], vcc
	s_xor_b64 s[6:7], exec, s[4:5]
	s_cbranch_execz .LBB11_14
; %bb.13:                               ;   in Loop: Header=BB11_4 Depth=1
	s_ashr_i32 s42, s13, 31
	s_add_u32 s4, s12, s42
	s_mov_b32 s43, s42
	s_addc_u32 s5, s13, s42
	s_xor_b64 s[44:45], s[4:5], s[42:43]
	v_cvt_f32_u32_e32 v3, s44
	v_cvt_f32_u32_e32 v5, s45
	s_sub_u32 s41, 0, s44
	s_subb_u32 s43, 0, s45
	v_mac_f32_e32 v3, 0x4f800000, v5
	v_rcp_f32_e32 v3, v3
	v_mul_f32_e32 v3, 0x5f7ffffc, v3
	v_mul_f32_e32 v5, 0x2f800000, v3
	v_trunc_f32_e32 v5, v5
	v_mac_f32_e32 v3, 0xcf800000, v5
	v_cvt_u32_f32_e32 v5, v5
	v_cvt_u32_f32_e32 v3, v3
	v_readfirstlane_b32 s46, v5
	v_readfirstlane_b32 s4, v3
	s_mul_i32 s5, s41, s46
	s_mul_hi_u32 s48, s41, s4
	s_mul_i32 s47, s43, s4
	s_add_i32 s5, s48, s5
	s_add_i32 s5, s5, s47
	s_mul_i32 s49, s41, s4
	s_mul_i32 s48, s4, s5
	s_mul_hi_u32 s50, s4, s49
	s_mul_hi_u32 s47, s4, s5
	s_add_u32 s48, s50, s48
	s_addc_u32 s47, 0, s47
	s_mul_hi_u32 s51, s46, s49
	s_mul_i32 s49, s46, s49
	s_add_u32 s48, s48, s49
	s_mul_hi_u32 s50, s46, s5
	s_addc_u32 s47, s47, s51
	s_addc_u32 s48, s50, 0
	s_mul_i32 s5, s46, s5
	s_add_u32 s5, s47, s5
	s_addc_u32 s47, 0, s48
	s_add_u32 s48, s4, s5
	s_cselect_b64 s[4:5], -1, 0
	s_cmp_lg_u64 s[4:5], 0
	s_addc_u32 s46, s46, s47
	s_mul_i32 s4, s41, s46
	s_mul_hi_u32 s5, s41, s48
	s_add_i32 s4, s5, s4
	s_mul_i32 s43, s43, s48
	s_add_i32 s4, s4, s43
	s_mul_i32 s41, s41, s48
	s_mul_hi_u32 s43, s46, s41
	s_mul_i32 s47, s46, s41
	s_mul_i32 s50, s48, s4
	s_mul_hi_u32 s41, s48, s41
	s_mul_hi_u32 s49, s48, s4
	s_add_u32 s41, s41, s50
	s_addc_u32 s49, 0, s49
	s_add_u32 s41, s41, s47
	s_mul_hi_u32 s5, s46, s4
	s_addc_u32 s41, s49, s43
	s_addc_u32 s5, s5, 0
	s_mul_i32 s4, s46, s4
	s_add_u32 s4, s41, s4
	s_addc_u32 s41, 0, s5
	s_add_u32 s43, s48, s4
	s_cselect_b64 s[4:5], -1, 0
	v_ashrrev_i32_e32 v3, 31, v7
	s_cmp_lg_u64 s[4:5], 0
	v_add_co_u32_e32 v5, vcc, v6, v3
	s_addc_u32 s41, s46, s41
	v_xor_b32_e32 v5, v5, v3
	v_addc_co_u32_e32 v9, vcc, v7, v3, vcc
	v_mad_u64_u32 v[7:8], s[4:5], v5, s41, 0
	v_mul_hi_u32 v10, v5, s43
	v_xor_b32_e32 v11, v9, v3
	v_xor_b32_e32 v3, s42, v3
	v_add_co_u32_e32 v12, vcc, v10, v7
	v_addc_co_u32_e32 v15, vcc, 0, v8, vcc
	v_mad_u64_u32 v[7:8], s[4:5], v11, s43, 0
	v_mad_u64_u32 v[9:10], s[4:5], v11, s41, 0
	v_add_co_u32_e32 v7, vcc, v12, v7
	v_addc_co_u32_e32 v7, vcc, v15, v8, vcc
	v_addc_co_u32_e32 v8, vcc, 0, v10, vcc
	v_add_co_u32_e32 v9, vcc, v7, v9
	v_addc_co_u32_e32 v7, vcc, 0, v8, vcc
	v_mul_lo_u32 v10, s45, v9
	v_mul_lo_u32 v12, s44, v7
	v_mad_u64_u32 v[7:8], s[4:5], s44, v9, 0
	v_add3_u32 v8, v8, v12, v10
	v_sub_u32_e32 v10, v11, v8
	v_mov_b32_e32 v12, s45
	v_sub_co_u32_e32 v5, vcc, v5, v7
	v_subb_co_u32_e64 v7, s[4:5], v10, v12, vcc
	v_subrev_co_u32_e64 v10, s[4:5], s44, v5
	v_subbrev_co_u32_e64 v7, s[4:5], 0, v7, s[4:5]
	v_cmp_le_u32_e64 s[4:5], s45, v7
	v_subb_co_u32_e32 v8, vcc, v11, v8, vcc
	v_cndmask_b32_e64 v12, 0, -1, s[4:5]
	v_cmp_le_u32_e64 s[4:5], s44, v10
	v_cmp_le_u32_e32 vcc, s45, v8
	v_cndmask_b32_e64 v10, 0, -1, s[4:5]
	v_cmp_eq_u32_e64 s[4:5], s45, v7
	v_cndmask_b32_e64 v11, 0, -1, vcc
	v_cmp_le_u32_e32 vcc, s44, v5
	v_cndmask_b32_e64 v7, v12, v10, s[4:5]
	v_cndmask_b32_e64 v5, 0, -1, vcc
	v_cmp_eq_u32_e32 vcc, s45, v8
	v_add_co_u32_e64 v10, s[4:5], 2, v9
	v_add_co_u32_e64 v12, s[4:5], 1, v9
	v_cndmask_b32_e32 v5, v11, v5, vcc
	v_cmp_ne_u32_e32 vcc, 0, v7
	v_cndmask_b32_e32 v7, v12, v10, vcc
	v_cmp_ne_u32_e32 vcc, 0, v5
	v_cndmask_b32_e32 v5, v9, v7, vcc
	v_xor_b32_e32 v5, v5, v3
	v_sub_co_u32_e32 v9, vcc, v5, v3
.LBB11_14:                              ;   in Loop: Header=BB11_4 Depth=1
	s_andn2_saveexec_b64 s[4:5], s[6:7]
	s_cbranch_execz .LBB11_16
; %bb.15:                               ;   in Loop: Header=BB11_4 Depth=1
	v_cvt_f32_u32_e32 v3, s12
	s_sub_i32 s6, 0, s12
	v_rcp_iflag_f32_e32 v3, v3
	v_mul_f32_e32 v3, 0x4f7ffffe, v3
	v_cvt_u32_f32_e32 v3, v3
	v_mul_lo_u32 v5, s6, v3
	v_mul_hi_u32 v5, v3, v5
	v_add_u32_e32 v3, v3, v5
	v_mul_hi_u32 v3, v6, v3
	v_mul_lo_u32 v5, v3, s12
	v_add_u32_e32 v7, 1, v3
	v_sub_u32_e32 v5, v6, v5
	v_subrev_u32_e32 v8, s12, v5
	v_cmp_le_u32_e32 vcc, s12, v5
	v_cndmask_b32_e32 v5, v5, v8, vcc
	v_cndmask_b32_e32 v3, v3, v7, vcc
	v_add_u32_e32 v7, 1, v3
	v_cmp_le_u32_e32 vcc, s12, v5
	v_cndmask_b32_e32 v9, v3, v7, vcc
.LBB11_16:                              ;   in Loop: Header=BB11_4 Depth=1
	s_or_b64 exec, exec, s[4:5]
	v_mul_lo_u32 v5, v6, s14
	v_mov_b32_e32 v3, 0
	v_sub_u32_e32 v5, v4, v5
	v_add_u32_e32 v7, s20, v5
	v_cmp_le_i32_e32 vcc, s16, v7
	v_mov_b32_e32 v5, 0
	s_and_saveexec_b64 s[4:5], vcc
	s_cbranch_execz .LBB11_18
; %bb.17:                               ;   in Loop: Header=BB11_4 Depth=1
	v_subrev_u32_e32 v5, s16, v7
	v_mul_hi_u32 v8, v5, v13
	v_mul_lo_u32 v10, v8, s33
	v_add_u32_e32 v11, 1, v8
	v_sub_u32_e32 v5, v5, v10
	v_cmp_le_u32_e32 vcc, s33, v5
	v_subrev_u32_e32 v10, s33, v5
	v_cndmask_b32_e32 v8, v8, v11, vcc
	v_cndmask_b32_e32 v5, v5, v10, vcc
	v_add_u32_e32 v10, 1, v8
	v_cmp_le_u32_e32 vcc, s33, v5
	v_cndmask_b32_e32 v5, v8, v10, vcc
	v_xor_b32_e32 v5, s55, v5
	v_subrev_u32_e32 v5, s55, v5
	v_add_u32_e32 v5, 1, v5
.LBB11_18:                              ;   in Loop: Header=BB11_4 Depth=1
	s_or_b64 exec, exec, s[4:5]
	v_mul_lo_u32 v4, v4, s24
	v_sub_u32_e32 v4, v0, v4
	v_add_u32_e32 v4, s21, v4
	v_cmp_le_i32_e32 vcc, s17, v4
	s_and_saveexec_b64 s[4:5], vcc
	s_cbranch_execz .LBB11_20
; %bb.19:                               ;   in Loop: Header=BB11_4 Depth=1
	v_subrev_u32_e32 v3, s17, v4
	v_mul_hi_u32 v8, v3, v14
	v_mul_lo_u32 v10, v8, s35
	v_add_u32_e32 v11, 1, v8
	v_sub_u32_e32 v3, v3, v10
	v_cmp_le_u32_e32 vcc, s35, v3
	v_subrev_u32_e32 v10, s35, v3
	v_cndmask_b32_e32 v8, v8, v11, vcc
	v_cndmask_b32_e32 v3, v3, v10, vcc
	v_add_u32_e32 v10, 1, v8
	v_cmp_le_u32_e32 vcc, s35, v3
	v_cndmask_b32_e32 v3, v8, v10, vcc
	v_xor_b32_e32 v3, s56, v3
	v_subrev_u32_e32 v3, s56, v3
	v_add_u32_e32 v3, 1, v3
.LBB11_20:                              ;   in Loop: Header=BB11_4 Depth=1
	s_or_b64 exec, exec, s[4:5]
	v_sub_u32_e32 v8, 0, v7
	v_max_i32_e32 v8, v7, v8
	v_mul_hi_u32 v10, v8, v13
	v_ashrrev_i32_e32 v7, 31, v7
	v_xor_b32_e32 v7, s55, v7
	v_mul_lo_u32 v11, v10, s33
	v_add_u32_e32 v12, 1, v10
	v_sub_u32_e32 v8, v8, v11
	v_cmp_le_u32_e32 vcc, s33, v8
	v_subrev_u32_e32 v11, s33, v8
	v_cndmask_b32_e32 v10, v10, v12, vcc
	v_cndmask_b32_e32 v8, v8, v11, vcc
	v_add_u32_e32 v11, 1, v10
	v_cmp_le_u32_e32 vcc, s33, v8
	v_cndmask_b32_e32 v8, v10, v11, vcc
	v_xor_b32_e32 v8, v8, v7
	v_sub_u32_e32 v7, v8, v7
	v_add_u32_e32 v7, 1, v7
	v_min_i32_e32 v15, s26, v7
	v_mov_b32_e32 v7, 0
	v_mov_b32_e32 v8, 0
	v_cmp_lt_i32_e32 vcc, v5, v15
	s_and_saveexec_b64 s[42:43], vcc
	s_cbranch_execz .LBB11_3
; %bb.21:                               ;   in Loop: Header=BB11_4 Depth=1
	v_sub_u32_e32 v7, 0, v4
	v_max_i32_e32 v7, v4, v7
	v_mul_hi_u32 v8, v7, v14
	v_mul_lo_u32 v10, v9, s12
	v_ashrrev_i32_e32 v12, 31, v9
	v_ashrrev_i32_e32 v4, 31, v4
	v_mul_lo_u32 v11, v8, s35
	v_sub_u32_e32 v6, v6, v10
	v_add_u32_e32 v10, 1, v8
	v_xor_b32_e32 v4, s56, v4
	v_sub_u32_e32 v11, v7, v11
	v_cmp_le_u32_e32 vcc, s35, v11
	v_ashrrev_i32_e32 v7, 31, v6
	v_cndmask_b32_e32 v10, v8, v10, vcc
	v_mad_u64_u32 v[7:8], s[4:5], v9, s12, v[6:7]
	v_mul_lo_u32 v6, v9, s13
	v_mul_lo_u32 v9, v12, s12
	v_subrev_u32_e32 v12, s35, v11
	v_cndmask_b32_e32 v11, v11, v12, vcc
	v_add_u32_e32 v12, 1, v10
	v_add3_u32 v16, v9, v8, v6
	v_ashrrev_i32_e32 v6, 31, v5
	v_lshlrev_b64 v[8:9], 3, v[5:6]
	v_mul_lo_u32 v17, s31, v7
	v_mul_lo_u32 v16, s30, v16
	v_mad_u64_u32 v[6:7], s[4:5], s30, v7, v[8:9]
	v_cmp_le_u32_e32 vcc, s35, v11
	v_cndmask_b32_e32 v8, v10, v12, vcc
	v_xor_b32_e32 v8, v8, v4
	v_sub_u32_e32 v9, v8, v4
	v_ashrrev_i32_e32 v4, 31, v3
	v_add3_u32 v10, v17, v7, v16
	v_lshlrev_b64 v[7:8], 3, v[3:4]
	v_mul_lo_u32 v10, s28, v10
	v_mul_lo_u32 v11, s29, v6
	v_mad_u64_u32 v[6:7], s[4:5], s28, v6, v[7:8]
	v_add_u32_e32 v4, 1, v9
	v_mov_b32_e32 v8, s11
	v_add3_u32 v7, v11, v7, v10
	v_mul_lo_u32 v11, s19, v3
	v_add_co_u32_e32 v9, vcc, s10, v6
	v_min_i32_e32 v4, s28, v4
	v_addc_co_u32_e32 v10, vcc, v8, v7, vcc
	v_mov_b32_e32 v7, 0
	v_cmp_lt_i32_e64 s[4:5], v3, v4
	v_add_u32_e32 v6, s27, v11
	v_add_u32_e32 v16, s57, v11
	v_sub_u32_e32 v17, s21, v11
	v_mov_b32_e32 v8, 0
	s_mov_b64 s[44:45], 0
	s_branch .LBB11_24
.LBB11_22:                              ;   in Loop: Header=BB11_24 Depth=2
	s_or_b64 exec, exec, s[48:49]
.LBB11_23:                              ;   in Loop: Header=BB11_24 Depth=2
	s_or_b64 exec, exec, s[46:47]
	v_add_u32_e32 v5, 1, v5
	v_cmp_ge_i32_e32 vcc, v5, v15
	v_mov_b32_e32 v11, s37
	s_or_b64 s[44:45], vcc, s[44:45]
	v_add_co_u32_e32 v9, vcc, s36, v9
	v_addc_co_u32_e32 v10, vcc, v10, v11, vcc
	s_andn2_b64 exec, exec, s[44:45]
	s_cbranch_execz .LBB11_2
.LBB11_24:                              ;   Parent Loop BB11_4 Depth=1
                                        ; =>  This Loop Header: Depth=2
                                        ;       Child Loop BB11_27 Depth 3
	s_and_saveexec_b64 s[46:47], s[4:5]
	s_cbranch_execz .LBB11_23
; %bb.25:                               ;   in Loop: Header=BB11_24 Depth=2
	v_mul_lo_u32 v11, v5, s18
	s_mov_b64 s[48:49], 0
	v_mov_b32_e32 v21, v16
	v_mov_b32_e32 v22, v6
	v_subrev_u32_e32 v11, s20, v11
	v_add_u32_e32 v12, s16, v11
	v_min_i32_e32 v12, s53, v12
	v_max_i32_e32 v19, 0, v11
	v_min_i32_e32 v20, s14, v12
	v_sub_u32_e32 v18, v12, v11
	v_mov_b32_e32 v12, v10
	v_cmp_gt_i32_e64 s[6:7], v20, v19
	v_sub_u32_e32 v19, v20, v19
	v_mov_b32_e32 v20, v17
	v_mov_b32_e32 v11, v9
	;; [unrolled: 1-line block ×3, first 2 shown]
	s_branch .LBB11_27
.LBB11_26:                              ;   in Loop: Header=BB11_27 Depth=3
	s_or_b64 exec, exec, s[50:51]
	v_add_co_u32_e32 v11, vcc, 8, v11
	v_add_u32_e32 v23, 1, v23
	v_addc_co_u32_e32 v12, vcc, 0, v12, vcc
	v_cmp_ge_i32_e32 vcc, v23, v4
	v_add_u32_e32 v22, s19, v22
	v_add_u32_e32 v21, s19, v21
	s_or_b64 s[48:49], vcc, s[48:49]
	v_subrev_u32_e32 v20, s19, v20
	s_andn2_b64 exec, exec, s[48:49]
	s_cbranch_execz .LBB11_22
.LBB11_27:                              ;   Parent Loop BB11_4 Depth=1
                                        ;     Parent Loop BB11_24 Depth=2
                                        ; =>    This Inner Loop Header: Depth=3
	v_add_u32_e32 v25, s17, v22
	v_mov_b32_e32 v26, s24
	v_max_i32_e32 v24, 0, v22
	v_min3_i32 v25, v25, s54, v26
	v_cmp_gt_i32_e32 vcc, v25, v24
	s_and_b64 s[58:59], s[6:7], vcc
	s_and_saveexec_b64 s[50:51], s[58:59]
	s_cbranch_execz .LBB11_26
; %bb.28:                               ;   in Loop: Header=BB11_27 Depth=3
	global_load_dwordx2 v[26:27], v[11:12], off
	v_min_i32_e32 v28, s54, v21
	v_sub_u32_e32 v24, v25, v24
	v_add_u32_e32 v25, v28, v20
	v_mul_lo_u32 v24, v24, v19
	v_mul_lo_u32 v25, v25, v18
	v_mov_b32_e32 v28, s34
	v_cndmask_b32_e64 v24, v24, v25, s[0:1]
	v_cndmask_b32_e64 v24, v24, v28, s[2:3]
	v_cvt_f64_i32_e32 v[24:25], v24
	s_waitcnt vmcnt(0)
	v_div_scale_f64 v[28:29], s[58:59], v[24:25], v[24:25], v[26:27]
	v_div_scale_f64 v[34:35], vcc, v[26:27], v[24:25], v[26:27]
	v_rcp_f64_e32 v[30:31], v[28:29]
	v_fma_f64 v[32:33], -v[28:29], v[30:31], 1.0
	v_fma_f64 v[30:31], v[30:31], v[32:33], v[30:31]
	v_fma_f64 v[32:33], -v[28:29], v[30:31], 1.0
	v_fma_f64 v[30:31], v[30:31], v[32:33], v[30:31]
	v_mul_f64 v[32:33], v[34:35], v[30:31]
	v_fma_f64 v[28:29], -v[28:29], v[32:33], v[34:35]
	v_div_fmas_f64 v[28:29], v[28:29], v[30:31], v[32:33]
	v_div_fixup_f64 v[24:25], v[28:29], v[24:25], v[26:27]
	v_add_f64 v[7:8], v[7:8], v[24:25]
	s_branch .LBB11_26
.LBB11_29:
	s_endpgm
	.section	.rodata,"a",@progbits
	.p2align	6, 0x0
	.amdhsa_kernel _ZN2at6native12_GLOBAL__N_134avg_pool2d_backward_out_cuda_frameIddlEEvT1_PKT_llllliiiiiiPS4_ibb
		.amdhsa_group_segment_fixed_size 0
		.amdhsa_private_segment_fixed_size 0
		.amdhsa_kernarg_size 352
		.amdhsa_user_sgpr_count 6
		.amdhsa_user_sgpr_private_segment_buffer 1
		.amdhsa_user_sgpr_dispatch_ptr 0
		.amdhsa_user_sgpr_queue_ptr 0
		.amdhsa_user_sgpr_kernarg_segment_ptr 1
		.amdhsa_user_sgpr_dispatch_id 0
		.amdhsa_user_sgpr_flat_scratch_init 0
		.amdhsa_user_sgpr_private_segment_size 0
		.amdhsa_uses_dynamic_stack 0
		.amdhsa_system_sgpr_private_segment_wavefront_offset 0
		.amdhsa_system_sgpr_workgroup_id_x 1
		.amdhsa_system_sgpr_workgroup_id_y 0
		.amdhsa_system_sgpr_workgroup_id_z 0
		.amdhsa_system_sgpr_workgroup_info 0
		.amdhsa_system_vgpr_workitem_id 0
		.amdhsa_next_free_vgpr 36
		.amdhsa_next_free_sgpr 60
		.amdhsa_reserve_vcc 1
		.amdhsa_reserve_flat_scratch 0
		.amdhsa_float_round_mode_32 0
		.amdhsa_float_round_mode_16_64 0
		.amdhsa_float_denorm_mode_32 3
		.amdhsa_float_denorm_mode_16_64 3
		.amdhsa_dx10_clamp 1
		.amdhsa_ieee_mode 1
		.amdhsa_fp16_overflow 0
		.amdhsa_exception_fp_ieee_invalid_op 0
		.amdhsa_exception_fp_denorm_src 0
		.amdhsa_exception_fp_ieee_div_zero 0
		.amdhsa_exception_fp_ieee_overflow 0
		.amdhsa_exception_fp_ieee_underflow 0
		.amdhsa_exception_fp_ieee_inexact 0
		.amdhsa_exception_int_div_zero 0
	.end_amdhsa_kernel
	.section	.text._ZN2at6native12_GLOBAL__N_134avg_pool2d_backward_out_cuda_frameIddlEEvT1_PKT_llllliiiiiiPS4_ibb,"axG",@progbits,_ZN2at6native12_GLOBAL__N_134avg_pool2d_backward_out_cuda_frameIddlEEvT1_PKT_llllliiiiiiPS4_ibb,comdat
.Lfunc_end11:
	.size	_ZN2at6native12_GLOBAL__N_134avg_pool2d_backward_out_cuda_frameIddlEEvT1_PKT_llllliiiiiiPS4_ibb, .Lfunc_end11-_ZN2at6native12_GLOBAL__N_134avg_pool2d_backward_out_cuda_frameIddlEEvT1_PKT_llllliiiiiiPS4_ibb
                                        ; -- End function
	.set _ZN2at6native12_GLOBAL__N_134avg_pool2d_backward_out_cuda_frameIddlEEvT1_PKT_llllliiiiiiPS4_ibb.num_vgpr, 36
	.set _ZN2at6native12_GLOBAL__N_134avg_pool2d_backward_out_cuda_frameIddlEEvT1_PKT_llllliiiiiiPS4_ibb.num_agpr, 0
	.set _ZN2at6native12_GLOBAL__N_134avg_pool2d_backward_out_cuda_frameIddlEEvT1_PKT_llllliiiiiiPS4_ibb.numbered_sgpr, 60
	.set _ZN2at6native12_GLOBAL__N_134avg_pool2d_backward_out_cuda_frameIddlEEvT1_PKT_llllliiiiiiPS4_ibb.num_named_barrier, 0
	.set _ZN2at6native12_GLOBAL__N_134avg_pool2d_backward_out_cuda_frameIddlEEvT1_PKT_llllliiiiiiPS4_ibb.private_seg_size, 0
	.set _ZN2at6native12_GLOBAL__N_134avg_pool2d_backward_out_cuda_frameIddlEEvT1_PKT_llllliiiiiiPS4_ibb.uses_vcc, 1
	.set _ZN2at6native12_GLOBAL__N_134avg_pool2d_backward_out_cuda_frameIddlEEvT1_PKT_llllliiiiiiPS4_ibb.uses_flat_scratch, 0
	.set _ZN2at6native12_GLOBAL__N_134avg_pool2d_backward_out_cuda_frameIddlEEvT1_PKT_llllliiiiiiPS4_ibb.has_dyn_sized_stack, 0
	.set _ZN2at6native12_GLOBAL__N_134avg_pool2d_backward_out_cuda_frameIddlEEvT1_PKT_llllliiiiiiPS4_ibb.has_recursion, 0
	.set _ZN2at6native12_GLOBAL__N_134avg_pool2d_backward_out_cuda_frameIddlEEvT1_PKT_llllliiiiiiPS4_ibb.has_indirect_call, 0
	.section	.AMDGPU.csdata,"",@progbits
; Kernel info:
; codeLenInByte = 3460
; TotalNumSgprs: 64
; NumVgprs: 36
; ScratchSize: 0
; MemoryBound: 0
; FloatMode: 240
; IeeeMode: 1
; LDSByteSize: 0 bytes/workgroup (compile time only)
; SGPRBlocks: 7
; VGPRBlocks: 8
; NumSGPRsForWavesPerEU: 64
; NumVGPRsForWavesPerEU: 36
; Occupancy: 7
; WaveLimiterHint : 0
; COMPUTE_PGM_RSRC2:SCRATCH_EN: 0
; COMPUTE_PGM_RSRC2:USER_SGPR: 6
; COMPUTE_PGM_RSRC2:TRAP_HANDLER: 0
; COMPUTE_PGM_RSRC2:TGID_X_EN: 1
; COMPUTE_PGM_RSRC2:TGID_Y_EN: 0
; COMPUTE_PGM_RSRC2:TGID_Z_EN: 0
; COMPUTE_PGM_RSRC2:TIDIG_COMP_CNT: 0
	.section	.text._ZN2at6native12_GLOBAL__N_139avg_pool2d_backward_out_cuda_frame_nhwcIffiEEvT1_PKT_llliiiiiiiiPS4_ibb,"axG",@progbits,_ZN2at6native12_GLOBAL__N_139avg_pool2d_backward_out_cuda_frame_nhwcIffiEEvT1_PKT_llliiiiiiiiPS4_ibb,comdat
	.globl	_ZN2at6native12_GLOBAL__N_139avg_pool2d_backward_out_cuda_frame_nhwcIffiEEvT1_PKT_llliiiiiiiiPS4_ibb ; -- Begin function _ZN2at6native12_GLOBAL__N_139avg_pool2d_backward_out_cuda_frame_nhwcIffiEEvT1_PKT_llliiiiiiiiPS4_ibb
	.p2align	8
	.type	_ZN2at6native12_GLOBAL__N_139avg_pool2d_backward_out_cuda_frame_nhwcIffiEEvT1_PKT_llliiiiiiiiPS4_ibb,@function
_ZN2at6native12_GLOBAL__N_139avg_pool2d_backward_out_cuda_frame_nhwcIffiEEvT1_PKT_llliiiiiiiiPS4_ibb: ; @_ZN2at6native12_GLOBAL__N_139avg_pool2d_backward_out_cuda_frame_nhwcIffiEEvT1_PKT_llliiiiiiiiPS4_ibb
; %bb.0:
	s_load_dword s28, s[4:5], 0x0
	s_load_dword s0, s[4:5], 0x64
	v_mov_b32_e32 v2, 0
	v_mov_b32_e32 v1, v2
	;; [unrolled: 1-line block ×3, first 2 shown]
	s_waitcnt lgkmcnt(0)
	s_ashr_i32 s29, s28, 31
	s_add_u32 s30, s4, 0x58
	s_addc_u32 s31, s5, 0
	s_and_b32 s7, s0, 0xffff
	v_mad_u64_u32 v[0:1], s[0:1], s7, v3, v[0:1]
	v_cmp_gt_i64_e32 vcc, s[28:29], v[0:1]
	s_and_saveexec_b64 s[0:1], vcc
	s_cbranch_execz .LBB12_29
; %bb.1:
	s_load_dwordx4 s[24:27], s[4:5], 0x48
	s_load_dword s2, s[4:5], 0x54
	s_load_dwordx8 s[8:15], s[4:5], 0x8
	s_load_dwordx8 s[16:23], s[4:5], 0x28
	s_waitcnt lgkmcnt(0)
	s_bitcmp1_b32 s27, 0
	s_cselect_b64 s[0:1], -1, 0
	s_bitcmp1_b32 s2, 8
	s_cselect_b64 s[2:3], -1, 0
	s_ashr_i32 s5, s16, 31
	s_mul_hi_u32 s27, s10, s16
	s_mul_i32 s5, s10, s5
	s_load_dword s4, s[30:31], 0x0
	s_ashr_i32 s6, s17, 31
	s_add_i32 s5, s27, s5
	s_mul_i32 s27, s11, s16
	s_mul_i32 s30, s10, s16
	s_add_i32 s5, s5, s27
	s_mul_i32 s6, s30, s6
	s_mul_hi_u32 s27, s30, s17
	s_add_i32 s6, s27, s6
	s_abs_i32 s27, s20
	v_cvt_f32_u32_e32 v3, s27
	s_abs_i32 s33, s21
	v_cvt_f32_u32_e32 v4, s33
	s_mul_i32 s5, s5, s17
	v_rcp_iflag_f32_e32 v3, v3
	s_add_i32 s46, s6, s5
	v_rcp_iflag_f32_e32 v4, v4
	s_sub_i32 s5, 0, s27
	v_mul_f32_e32 v3, 0x4f7ffffe, v3
	v_cvt_u32_f32_e32 v3, v3
	v_mul_f32_e32 v4, 0x4f7ffffe, v4
	v_cvt_u32_f32_e32 v4, v4
	s_mul_i32 s47, s30, s17
	v_mul_lo_u32 v5, s5, v3
	s_sub_i32 s5, 0, s33
	v_mul_lo_u32 v6, s5, v4
	s_add_i32 s48, s22, s12
	v_mul_hi_u32 v5, v3, v5
	s_add_i32 s49, s23, s14
	v_mul_hi_u32 v6, v4, v6
	s_waitcnt lgkmcnt(0)
	s_mul_i32 s50, s4, s7
	s_ashr_i32 s51, s20, 31
	v_add_u32_e32 v10, v3, v5
	s_ashr_i32 s52, s21, 31
	v_add_u32_e32 v11, v4, v6
	s_sub_i32 s53, 0, s23
	s_sub_i32 s54, s19, s23
	s_mov_b64 s[30:31], 0
	s_ashr_i32 s34, s11, 31
	s_branch .LBB12_4
.LBB12_2:                               ;   in Loop: Header=BB12_4 Depth=1
	s_or_b64 exec, exec, s[38:39]
.LBB12_3:                               ;   in Loop: Header=BB12_4 Depth=1
	s_or_b64 exec, exec, s[36:37]
	v_lshlrev_b64 v[3:4], 2, v[0:1]
	v_add_co_u32_e32 v0, vcc, s50, v0
	v_addc_co_u32_e32 v1, vcc, 0, v1, vcc
	v_cmp_le_i64_e32 vcc, s[28:29], v[0:1]
	v_mov_b32_e32 v5, s25
	v_add_co_u32_e64 v3, s[4:5], s24, v3
	v_addc_co_u32_e64 v4, s[4:5], v5, v4, s[4:5]
	s_or_b64 s[30:31], vcc, s[30:31]
	global_store_dword v[3:4], v12, off
	s_andn2_b64 exec, exec, s[30:31]
	s_cbranch_execz .LBB12_29
.LBB12_4:                               ; =>This Loop Header: Depth=1
                                        ;     Child Loop BB12_24 Depth 2
                                        ;       Child Loop BB12_27 Depth 3
	v_or_b32_e32 v3, s11, v1
	v_cmp_ne_u64_e32 vcc, 0, v[2:3]
                                        ; implicit-def: $vgpr4_vgpr5
	s_and_saveexec_b64 s[4:5], vcc
	s_xor_b64 s[6:7], exec, s[4:5]
	s_cbranch_execz .LBB12_6
; %bb.5:                                ;   in Loop: Header=BB12_4 Depth=1
	s_add_u32 s4, s10, s34
	s_mov_b32 s35, s34
	s_addc_u32 s5, s11, s34
	s_xor_b64 s[36:37], s[4:5], s[34:35]
	v_cvt_f32_u32_e32 v3, s36
	v_cvt_f32_u32_e32 v4, s37
	s_sub_u32 s35, 0, s36
	s_subb_u32 s38, 0, s37
	v_ashrrev_i32_e32 v7, 31, v1
	v_mac_f32_e32 v3, 0x4f800000, v4
	v_rcp_f32_e32 v3, v3
	v_mul_f32_e32 v3, 0x5f7ffffc, v3
	v_mul_f32_e32 v4, 0x2f800000, v3
	v_trunc_f32_e32 v4, v4
	v_mac_f32_e32 v3, 0xcf800000, v4
	v_cvt_u32_f32_e32 v4, v4
	v_cvt_u32_f32_e32 v3, v3
	v_readfirstlane_b32 s39, v4
	v_readfirstlane_b32 s4, v3
	s_mul_i32 s5, s35, s39
	s_mul_hi_u32 s41, s35, s4
	s_mul_i32 s40, s38, s4
	s_add_i32 s5, s41, s5
	s_add_i32 s5, s5, s40
	s_mul_i32 s42, s35, s4
	s_mul_i32 s41, s4, s5
	s_mul_hi_u32 s43, s4, s42
	s_mul_hi_u32 s40, s4, s5
	s_add_u32 s41, s43, s41
	s_addc_u32 s40, 0, s40
	s_mul_hi_u32 s44, s39, s42
	s_mul_i32 s42, s39, s42
	s_add_u32 s41, s41, s42
	s_mul_hi_u32 s43, s39, s5
	s_addc_u32 s40, s40, s44
	s_addc_u32 s41, s43, 0
	s_mul_i32 s5, s39, s5
	s_add_u32 s5, s40, s5
	s_addc_u32 s40, 0, s41
	s_add_u32 s41, s4, s5
	s_cselect_b64 s[4:5], -1, 0
	s_cmp_lg_u64 s[4:5], 0
	s_addc_u32 s39, s39, s40
	s_mul_i32 s4, s35, s39
	s_mul_hi_u32 s5, s35, s41
	s_add_i32 s4, s5, s4
	s_mul_i32 s38, s38, s41
	s_add_i32 s4, s4, s38
	s_mul_i32 s35, s35, s41
	s_mul_hi_u32 s38, s39, s35
	s_mul_i32 s40, s39, s35
	s_mul_i32 s43, s41, s4
	s_mul_hi_u32 s35, s41, s35
	s_mul_hi_u32 s42, s41, s4
	s_add_u32 s35, s35, s43
	s_addc_u32 s42, 0, s42
	s_add_u32 s35, s35, s40
	s_mul_hi_u32 s5, s39, s4
	s_addc_u32 s35, s42, s38
	s_addc_u32 s5, s5, 0
	s_mul_i32 s4, s39, s4
	s_add_u32 s4, s35, s4
	s_addc_u32 s35, 0, s5
	s_add_u32 s38, s41, s4
	s_cselect_b64 s[4:5], -1, 0
	s_cmp_lg_u64 s[4:5], 0
	v_add_co_u32_e32 v3, vcc, v0, v7
	s_addc_u32 s35, s39, s35
	v_xor_b32_e32 v8, v3, v7
	v_mad_u64_u32 v[3:4], s[4:5], v8, s35, 0
	v_mul_hi_u32 v6, v8, s38
	v_addc_co_u32_e32 v5, vcc, v1, v7, vcc
	v_xor_b32_e32 v9, v5, v7
	v_add_co_u32_e32 v12, vcc, v6, v3
	v_addc_co_u32_e32 v13, vcc, 0, v4, vcc
	v_mad_u64_u32 v[3:4], s[4:5], v9, s38, 0
	v_mad_u64_u32 v[5:6], s[4:5], v9, s35, 0
	v_add_co_u32_e32 v3, vcc, v12, v3
	v_addc_co_u32_e32 v3, vcc, v13, v4, vcc
	v_addc_co_u32_e32 v4, vcc, 0, v6, vcc
	v_add_co_u32_e32 v5, vcc, v3, v5
	v_addc_co_u32_e32 v6, vcc, 0, v4, vcc
	v_mul_lo_u32 v12, s37, v5
	v_mul_lo_u32 v13, s36, v6
	v_mad_u64_u32 v[3:4], s[4:5], s36, v5, 0
	v_add3_u32 v4, v4, v13, v12
	v_sub_u32_e32 v12, v9, v4
	v_mov_b32_e32 v13, s37
	v_sub_co_u32_e32 v3, vcc, v8, v3
	v_subb_co_u32_e64 v8, s[4:5], v12, v13, vcc
	v_subrev_co_u32_e64 v12, s[4:5], s36, v3
	v_subbrev_co_u32_e64 v8, s[4:5], 0, v8, s[4:5]
	v_cmp_le_u32_e64 s[4:5], s37, v8
	v_cndmask_b32_e64 v13, 0, -1, s[4:5]
	v_cmp_le_u32_e64 s[4:5], s36, v12
	v_cndmask_b32_e64 v12, 0, -1, s[4:5]
	v_cmp_eq_u32_e64 s[4:5], s37, v8
	v_cndmask_b32_e64 v8, v13, v12, s[4:5]
	v_add_co_u32_e64 v12, s[4:5], 2, v5
	v_subb_co_u32_e32 v4, vcc, v9, v4, vcc
	v_addc_co_u32_e64 v13, s[4:5], 0, v6, s[4:5]
	v_cmp_le_u32_e32 vcc, s37, v4
	v_add_co_u32_e64 v14, s[4:5], 1, v5
	v_cndmask_b32_e64 v9, 0, -1, vcc
	v_cmp_le_u32_e32 vcc, s36, v3
	v_addc_co_u32_e64 v15, s[4:5], 0, v6, s[4:5]
	v_cndmask_b32_e64 v3, 0, -1, vcc
	v_cmp_eq_u32_e32 vcc, s37, v4
	v_cmp_ne_u32_e64 s[4:5], 0, v8
	v_cndmask_b32_e32 v3, v9, v3, vcc
	v_cmp_ne_u32_e32 vcc, 0, v3
	v_cndmask_b32_e64 v4, v14, v12, s[4:5]
	v_cndmask_b32_e64 v8, v15, v13, s[4:5]
	v_cndmask_b32_e32 v4, v5, v4, vcc
	v_xor_b32_e32 v5, s34, v7
	v_cndmask_b32_e32 v3, v6, v8, vcc
	v_xor_b32_e32 v4, v4, v5
	v_xor_b32_e32 v3, v3, v5
	v_sub_co_u32_e32 v4, vcc, v4, v5
	v_subb_co_u32_e32 v5, vcc, v3, v5, vcc
.LBB12_6:                               ;   in Loop: Header=BB12_4 Depth=1
	s_andn2_saveexec_b64 s[4:5], s[6:7]
	s_cbranch_execz .LBB12_8
; %bb.7:                                ;   in Loop: Header=BB12_4 Depth=1
	v_cvt_f32_u32_e32 v3, s10
	s_sub_i32 s6, 0, s10
	v_rcp_iflag_f32_e32 v3, v3
	v_mul_f32_e32 v3, 0x4f7ffffe, v3
	v_cvt_u32_f32_e32 v3, v3
	v_mul_lo_u32 v4, s6, v3
	v_mul_hi_u32 v4, v3, v4
	v_add_u32_e32 v3, v3, v4
	v_mul_hi_u32 v3, v0, v3
	v_mul_lo_u32 v4, v3, s10
	v_add_u32_e32 v5, 1, v3
	v_sub_u32_e32 v4, v0, v4
	v_subrev_u32_e32 v6, s10, v4
	v_cmp_le_u32_e32 vcc, s10, v4
	v_cndmask_b32_e32 v4, v4, v6, vcc
	v_cndmask_b32_e32 v3, v3, v5, vcc
	v_add_u32_e32 v5, 1, v3
	v_cmp_le_u32_e32 vcc, s10, v4
	v_cndmask_b32_e32 v4, v3, v5, vcc
	v_mov_b32_e32 v5, v2
.LBB12_8:                               ;   in Loop: Header=BB12_4 Depth=1
	s_or_b64 exec, exec, s[4:5]
	v_or_b32_e32 v3, s15, v5
	v_cmp_ne_u64_e32 vcc, 0, v[2:3]
                                        ; implicit-def: $vgpr6_vgpr7
	s_and_saveexec_b64 s[4:5], vcc
	s_xor_b64 s[6:7], exec, s[4:5]
	s_cbranch_execz .LBB12_10
; %bb.9:                                ;   in Loop: Header=BB12_4 Depth=1
	s_ashr_i32 s36, s15, 31
	s_add_u32 s4, s14, s36
	s_mov_b32 s37, s36
	s_addc_u32 s5, s15, s36
	s_xor_b64 s[38:39], s[4:5], s[36:37]
	v_cvt_f32_u32_e32 v3, s38
	v_cvt_f32_u32_e32 v6, s39
	s_sub_u32 s35, 0, s38
	s_subb_u32 s37, 0, s39
	v_mac_f32_e32 v3, 0x4f800000, v6
	v_rcp_f32_e32 v3, v3
	v_mul_f32_e32 v3, 0x5f7ffffc, v3
	v_mul_f32_e32 v6, 0x2f800000, v3
	v_trunc_f32_e32 v6, v6
	v_mac_f32_e32 v3, 0xcf800000, v6
	v_cvt_u32_f32_e32 v6, v6
	v_cvt_u32_f32_e32 v3, v3
	v_readfirstlane_b32 s40, v6
	v_readfirstlane_b32 s4, v3
	s_mul_i32 s5, s35, s40
	s_mul_hi_u32 s42, s35, s4
	s_mul_i32 s41, s37, s4
	s_add_i32 s5, s42, s5
	s_add_i32 s5, s5, s41
	s_mul_i32 s43, s35, s4
	s_mul_i32 s42, s4, s5
	s_mul_hi_u32 s44, s4, s43
	s_mul_hi_u32 s41, s4, s5
	s_add_u32 s42, s44, s42
	s_addc_u32 s41, 0, s41
	s_mul_hi_u32 s45, s40, s43
	s_mul_i32 s43, s40, s43
	s_add_u32 s42, s42, s43
	s_mul_hi_u32 s44, s40, s5
	s_addc_u32 s41, s41, s45
	s_addc_u32 s42, s44, 0
	s_mul_i32 s5, s40, s5
	s_add_u32 s5, s41, s5
	s_addc_u32 s41, 0, s42
	s_add_u32 s42, s4, s5
	s_cselect_b64 s[4:5], -1, 0
	s_cmp_lg_u64 s[4:5], 0
	s_addc_u32 s40, s40, s41
	s_mul_i32 s4, s35, s40
	s_mul_hi_u32 s5, s35, s42
	s_add_i32 s4, s5, s4
	s_mul_i32 s37, s37, s42
	s_add_i32 s4, s4, s37
	s_mul_i32 s35, s35, s42
	s_mul_hi_u32 s37, s40, s35
	s_mul_i32 s41, s40, s35
	s_mul_i32 s44, s42, s4
	s_mul_hi_u32 s35, s42, s35
	s_mul_hi_u32 s43, s42, s4
	s_add_u32 s35, s35, s44
	s_addc_u32 s43, 0, s43
	s_add_u32 s35, s35, s41
	s_mul_hi_u32 s5, s40, s4
	s_addc_u32 s35, s43, s37
	s_addc_u32 s5, s5, 0
	s_mul_i32 s4, s40, s4
	s_add_u32 s4, s35, s4
	s_addc_u32 s35, 0, s5
	s_add_u32 s37, s42, s4
	s_cselect_b64 s[4:5], -1, 0
	v_ashrrev_i32_e32 v3, 31, v5
	s_cmp_lg_u64 s[4:5], 0
	v_add_co_u32_e32 v6, vcc, v4, v3
	s_addc_u32 s35, s40, s35
	v_xor_b32_e32 v12, v6, v3
	v_mad_u64_u32 v[6:7], s[4:5], v12, s35, 0
	v_mul_hi_u32 v9, v12, s37
	v_addc_co_u32_e32 v8, vcc, v5, v3, vcc
	v_xor_b32_e32 v13, v8, v3
	v_add_co_u32_e32 v14, vcc, v9, v6
	v_addc_co_u32_e32 v15, vcc, 0, v7, vcc
	v_mad_u64_u32 v[6:7], s[4:5], v13, s37, 0
	v_mad_u64_u32 v[8:9], s[4:5], v13, s35, 0
	v_add_co_u32_e32 v6, vcc, v14, v6
	v_addc_co_u32_e32 v6, vcc, v15, v7, vcc
	v_addc_co_u32_e32 v7, vcc, 0, v9, vcc
	v_add_co_u32_e32 v8, vcc, v6, v8
	v_addc_co_u32_e32 v9, vcc, 0, v7, vcc
	v_mul_lo_u32 v14, s39, v8
	v_mul_lo_u32 v15, s38, v9
	v_mad_u64_u32 v[6:7], s[4:5], s38, v8, 0
	v_xor_b32_e32 v3, s36, v3
	v_add3_u32 v7, v7, v15, v14
	v_sub_u32_e32 v14, v13, v7
	v_mov_b32_e32 v15, s39
	v_sub_co_u32_e32 v6, vcc, v12, v6
	v_subb_co_u32_e64 v12, s[4:5], v14, v15, vcc
	v_subrev_co_u32_e64 v14, s[4:5], s38, v6
	v_subbrev_co_u32_e64 v12, s[4:5], 0, v12, s[4:5]
	v_cmp_le_u32_e64 s[4:5], s39, v12
	v_cndmask_b32_e64 v15, 0, -1, s[4:5]
	v_cmp_le_u32_e64 s[4:5], s38, v14
	v_cndmask_b32_e64 v14, 0, -1, s[4:5]
	v_cmp_eq_u32_e64 s[4:5], s39, v12
	v_cndmask_b32_e64 v12, v15, v14, s[4:5]
	v_add_co_u32_e64 v14, s[4:5], 2, v8
	v_subb_co_u32_e32 v7, vcc, v13, v7, vcc
	v_addc_co_u32_e64 v15, s[4:5], 0, v9, s[4:5]
	v_cmp_le_u32_e32 vcc, s39, v7
	v_add_co_u32_e64 v16, s[4:5], 1, v8
	v_cndmask_b32_e64 v13, 0, -1, vcc
	v_cmp_le_u32_e32 vcc, s38, v6
	v_addc_co_u32_e64 v17, s[4:5], 0, v9, s[4:5]
	v_cndmask_b32_e64 v6, 0, -1, vcc
	v_cmp_eq_u32_e32 vcc, s39, v7
	v_cmp_ne_u32_e64 s[4:5], 0, v12
	v_cndmask_b32_e32 v6, v13, v6, vcc
	v_cndmask_b32_e64 v12, v17, v15, s[4:5]
	v_cmp_ne_u32_e32 vcc, 0, v6
	v_cndmask_b32_e64 v7, v16, v14, s[4:5]
	v_cndmask_b32_e32 v6, v9, v12, vcc
	v_cndmask_b32_e32 v7, v8, v7, vcc
	v_xor_b32_e32 v8, v6, v3
	v_xor_b32_e32 v6, v7, v3
	v_sub_co_u32_e32 v6, vcc, v6, v3
	v_subb_co_u32_e32 v7, vcc, v8, v3, vcc
.LBB12_10:                              ;   in Loop: Header=BB12_4 Depth=1
	s_andn2_saveexec_b64 s[4:5], s[6:7]
	s_cbranch_execz .LBB12_12
; %bb.11:                               ;   in Loop: Header=BB12_4 Depth=1
	v_cvt_f32_u32_e32 v3, s14
	s_sub_i32 s6, 0, s14
	v_rcp_iflag_f32_e32 v3, v3
	v_mul_f32_e32 v3, 0x4f7ffffe, v3
	v_cvt_u32_f32_e32 v3, v3
	v_mul_lo_u32 v6, s6, v3
	v_mul_hi_u32 v6, v3, v6
	v_add_u32_e32 v3, v3, v6
	v_mul_hi_u32 v3, v4, v3
	v_mul_lo_u32 v6, v3, s14
	v_add_u32_e32 v7, 1, v3
	v_sub_u32_e32 v6, v4, v6
	v_subrev_u32_e32 v8, s14, v6
	v_cmp_le_u32_e32 vcc, s14, v6
	v_cndmask_b32_e32 v6, v6, v8, vcc
	v_cndmask_b32_e32 v3, v3, v7, vcc
	v_add_u32_e32 v7, 1, v3
	v_cmp_le_u32_e32 vcc, s14, v6
	v_cndmask_b32_e32 v6, v3, v7, vcc
	v_mov_b32_e32 v7, v2
.LBB12_12:                              ;   in Loop: Header=BB12_4 Depth=1
	s_or_b64 exec, exec, s[4:5]
	v_or_b32_e32 v3, s13, v7
	v_cmp_ne_u64_e32 vcc, 0, v[2:3]
                                        ; implicit-def: $vgpr8_vgpr9
	s_and_saveexec_b64 s[4:5], vcc
	s_xor_b64 s[6:7], exec, s[4:5]
	s_cbranch_execz .LBB12_14
; %bb.13:                               ;   in Loop: Header=BB12_4 Depth=1
	s_ashr_i32 s36, s13, 31
	s_add_u32 s4, s12, s36
	s_mov_b32 s37, s36
	s_addc_u32 s5, s13, s36
	s_xor_b64 s[38:39], s[4:5], s[36:37]
	v_cvt_f32_u32_e32 v3, s38
	v_cvt_f32_u32_e32 v8, s39
	s_sub_u32 s35, 0, s38
	s_subb_u32 s37, 0, s39
	v_mac_f32_e32 v3, 0x4f800000, v8
	v_rcp_f32_e32 v3, v3
	v_mul_f32_e32 v3, 0x5f7ffffc, v3
	v_mul_f32_e32 v8, 0x2f800000, v3
	v_trunc_f32_e32 v8, v8
	v_mac_f32_e32 v3, 0xcf800000, v8
	v_cvt_u32_f32_e32 v8, v8
	v_cvt_u32_f32_e32 v3, v3
	v_readfirstlane_b32 s40, v8
	v_readfirstlane_b32 s4, v3
	s_mul_i32 s5, s35, s40
	s_mul_hi_u32 s42, s35, s4
	s_mul_i32 s41, s37, s4
	s_add_i32 s5, s42, s5
	s_add_i32 s5, s5, s41
	s_mul_i32 s43, s35, s4
	s_mul_i32 s42, s4, s5
	s_mul_hi_u32 s44, s4, s43
	s_mul_hi_u32 s41, s4, s5
	s_add_u32 s42, s44, s42
	s_addc_u32 s41, 0, s41
	s_mul_hi_u32 s45, s40, s43
	s_mul_i32 s43, s40, s43
	s_add_u32 s42, s42, s43
	s_mul_hi_u32 s44, s40, s5
	s_addc_u32 s41, s41, s45
	s_addc_u32 s42, s44, 0
	s_mul_i32 s5, s40, s5
	s_add_u32 s5, s41, s5
	s_addc_u32 s41, 0, s42
	s_add_u32 s42, s4, s5
	s_cselect_b64 s[4:5], -1, 0
	s_cmp_lg_u64 s[4:5], 0
	s_addc_u32 s40, s40, s41
	s_mul_i32 s4, s35, s40
	s_mul_hi_u32 s5, s35, s42
	s_add_i32 s4, s5, s4
	s_mul_i32 s37, s37, s42
	s_add_i32 s4, s4, s37
	s_mul_i32 s35, s35, s42
	s_mul_hi_u32 s37, s40, s35
	s_mul_i32 s41, s40, s35
	s_mul_i32 s44, s42, s4
	s_mul_hi_u32 s35, s42, s35
	s_mul_hi_u32 s43, s42, s4
	s_add_u32 s35, s35, s44
	s_addc_u32 s43, 0, s43
	s_add_u32 s35, s35, s41
	s_mul_hi_u32 s5, s40, s4
	s_addc_u32 s35, s43, s37
	s_addc_u32 s5, s5, 0
	s_mul_i32 s4, s40, s4
	s_add_u32 s4, s35, s4
	s_addc_u32 s35, 0, s5
	s_add_u32 s37, s42, s4
	s_cselect_b64 s[4:5], -1, 0
	v_ashrrev_i32_e32 v3, 31, v7
	s_cmp_lg_u64 s[4:5], 0
	v_add_co_u32_e32 v8, vcc, v6, v3
	s_addc_u32 s35, s40, s35
	v_xor_b32_e32 v14, v8, v3
	v_addc_co_u32_e32 v9, vcc, v7, v3, vcc
	v_mad_u64_u32 v[7:8], s[4:5], v14, s35, 0
	v_mul_hi_u32 v12, v14, s37
	v_xor_b32_e32 v9, v9, v3
	v_xor_b32_e32 v3, s36, v3
	v_add_co_u32_e32 v15, vcc, v12, v7
	v_addc_co_u32_e32 v16, vcc, 0, v8, vcc
	v_mad_u64_u32 v[7:8], s[4:5], v9, s37, 0
	v_mad_u64_u32 v[12:13], s[4:5], v9, s35, 0
	v_add_co_u32_e32 v7, vcc, v15, v7
	v_addc_co_u32_e32 v7, vcc, v16, v8, vcc
	v_addc_co_u32_e32 v8, vcc, 0, v13, vcc
	v_add_co_u32_e32 v12, vcc, v7, v12
	v_addc_co_u32_e32 v13, vcc, 0, v8, vcc
	v_mul_lo_u32 v15, s39, v12
	v_mul_lo_u32 v16, s38, v13
	v_mad_u64_u32 v[7:8], s[4:5], s38, v12, 0
	v_add3_u32 v8, v8, v16, v15
	v_sub_u32_e32 v15, v9, v8
	v_mov_b32_e32 v16, s39
	v_sub_co_u32_e32 v7, vcc, v14, v7
	v_subb_co_u32_e64 v14, s[4:5], v15, v16, vcc
	v_subrev_co_u32_e64 v15, s[4:5], s38, v7
	v_subbrev_co_u32_e64 v14, s[4:5], 0, v14, s[4:5]
	v_cmp_le_u32_e64 s[4:5], s39, v14
	v_cndmask_b32_e64 v16, 0, -1, s[4:5]
	v_cmp_le_u32_e64 s[4:5], s38, v15
	v_cndmask_b32_e64 v15, 0, -1, s[4:5]
	v_cmp_eq_u32_e64 s[4:5], s39, v14
	v_cndmask_b32_e64 v14, v16, v15, s[4:5]
	v_add_co_u32_e64 v15, s[4:5], 2, v12
	v_subb_co_u32_e32 v8, vcc, v9, v8, vcc
	v_addc_co_u32_e64 v16, s[4:5], 0, v13, s[4:5]
	v_cmp_le_u32_e32 vcc, s39, v8
	v_add_co_u32_e64 v17, s[4:5], 1, v12
	v_cndmask_b32_e64 v9, 0, -1, vcc
	v_cmp_le_u32_e32 vcc, s38, v7
	v_addc_co_u32_e64 v18, s[4:5], 0, v13, s[4:5]
	v_cndmask_b32_e64 v7, 0, -1, vcc
	v_cmp_eq_u32_e32 vcc, s39, v8
	v_cmp_ne_u32_e64 s[4:5], 0, v14
	v_cndmask_b32_e32 v7, v9, v7, vcc
	v_cmp_ne_u32_e32 vcc, 0, v7
	v_cndmask_b32_e64 v8, v17, v15, s[4:5]
	v_cndmask_b32_e64 v14, v18, v16, s[4:5]
	v_cndmask_b32_e32 v8, v12, v8, vcc
	v_cndmask_b32_e32 v7, v13, v14, vcc
	v_xor_b32_e32 v8, v8, v3
	v_xor_b32_e32 v7, v7, v3
	v_sub_co_u32_e32 v8, vcc, v8, v3
	v_subb_co_u32_e32 v9, vcc, v7, v3, vcc
.LBB12_14:                              ;   in Loop: Header=BB12_4 Depth=1
	s_andn2_saveexec_b64 s[4:5], s[6:7]
	s_cbranch_execz .LBB12_16
; %bb.15:                               ;   in Loop: Header=BB12_4 Depth=1
	v_cvt_f32_u32_e32 v3, s12
	s_sub_i32 s6, 0, s12
	v_rcp_iflag_f32_e32 v3, v3
	v_mul_f32_e32 v3, 0x4f7ffffe, v3
	v_cvt_u32_f32_e32 v3, v3
	v_mul_lo_u32 v7, s6, v3
	v_mul_hi_u32 v7, v3, v7
	v_add_u32_e32 v3, v3, v7
	v_mul_hi_u32 v3, v6, v3
	v_mul_lo_u32 v7, v3, s12
	v_add_u32_e32 v8, 1, v3
	v_sub_u32_e32 v7, v6, v7
	v_subrev_u32_e32 v9, s12, v7
	v_cmp_le_u32_e32 vcc, s12, v7
	v_cndmask_b32_e32 v7, v7, v9, vcc
	v_cndmask_b32_e32 v3, v3, v8, vcc
	v_add_u32_e32 v8, 1, v3
	v_cmp_le_u32_e32 vcc, s12, v7
	v_cndmask_b32_e32 v8, v3, v8, vcc
	v_mov_b32_e32 v9, v2
.LBB12_16:                              ;   in Loop: Header=BB12_4 Depth=1
	s_or_b64 exec, exec, s[4:5]
	v_mul_lo_u32 v7, v8, s12
	v_mov_b32_e32 v3, 0
	v_sub_u32_e32 v12, v6, v7
	v_cmp_le_i32_e32 vcc, s18, v12
	v_mov_b32_e32 v7, 0
	s_and_saveexec_b64 s[4:5], vcc
	s_cbranch_execz .LBB12_18
; %bb.17:                               ;   in Loop: Header=BB12_4 Depth=1
	v_subrev_u32_e32 v7, s18, v12
	v_mul_hi_u32 v13, v7, v10
	v_mul_lo_u32 v14, v13, s27
	v_add_u32_e32 v15, 1, v13
	v_sub_u32_e32 v7, v7, v14
	v_cmp_le_u32_e32 vcc, s27, v7
	v_subrev_u32_e32 v14, s27, v7
	v_cndmask_b32_e32 v13, v13, v15, vcc
	v_cndmask_b32_e32 v7, v7, v14, vcc
	v_add_u32_e32 v14, 1, v13
	v_cmp_le_u32_e32 vcc, s27, v7
	v_cndmask_b32_e32 v7, v13, v14, vcc
	v_xor_b32_e32 v7, s51, v7
	v_subrev_u32_e32 v7, s51, v7
	v_add_u32_e32 v7, 1, v7
.LBB12_18:                              ;   in Loop: Header=BB12_4 Depth=1
	s_or_b64 exec, exec, s[4:5]
	v_mul_lo_u32 v6, v6, s14
	v_sub_u32_e32 v13, v4, v6
	v_cmp_le_i32_e32 vcc, s19, v13
	s_and_saveexec_b64 s[4:5], vcc
	s_cbranch_execz .LBB12_20
; %bb.19:                               ;   in Loop: Header=BB12_4 Depth=1
	v_subrev_u32_e32 v3, s19, v13
	v_mul_hi_u32 v6, v3, v11
	v_mul_lo_u32 v14, v6, s33
	v_add_u32_e32 v15, 1, v6
	v_sub_u32_e32 v3, v3, v14
	v_cmp_le_u32_e32 vcc, s33, v3
	v_subrev_u32_e32 v14, s33, v3
	v_cndmask_b32_e32 v6, v6, v15, vcc
	v_cndmask_b32_e32 v3, v3, v14, vcc
	v_add_u32_e32 v14, 1, v6
	v_cmp_le_u32_e32 vcc, s33, v3
	v_cndmask_b32_e32 v3, v6, v14, vcc
	v_xor_b32_e32 v3, s52, v3
	v_subrev_u32_e32 v3, s52, v3
	v_add_u32_e32 v3, 1, v3
.LBB12_20:                              ;   in Loop: Header=BB12_4 Depth=1
	s_or_b64 exec, exec, s[4:5]
	v_sub_u32_e32 v6, 0, v12
	v_max_i32_e32 v6, v12, v6
	v_mul_hi_u32 v14, v6, v10
	v_ashrrev_i32_e32 v12, 31, v12
	v_xor_b32_e32 v12, s51, v12
	v_mul_lo_u32 v15, v14, s27
	v_add_u32_e32 v16, 1, v14
	v_sub_u32_e32 v6, v6, v15
	v_cmp_le_u32_e32 vcc, s27, v6
	v_subrev_u32_e32 v15, s27, v6
	v_cndmask_b32_e32 v14, v14, v16, vcc
	v_cndmask_b32_e32 v6, v6, v15, vcc
	v_add_u32_e32 v15, 1, v14
	v_cmp_le_u32_e32 vcc, s27, v6
	v_cndmask_b32_e32 v6, v14, v15, vcc
	v_xor_b32_e32 v6, v6, v12
	v_sub_u32_e32 v6, v6, v12
	v_add_u32_e32 v6, 1, v6
	v_min_i32_e32 v6, s16, v6
	v_cmp_lt_i32_e32 vcc, v7, v6
	v_mov_b32_e32 v12, 0
	s_and_saveexec_b64 s[36:37], vcc
	s_cbranch_execz .LBB12_3
; %bb.21:                               ;   in Loop: Header=BB12_4 Depth=1
	v_sub_u32_e32 v15, 0, v13
	v_max_i32_e32 v16, v13, v15
	v_mul_lo_u32 v12, v5, s10
	v_mul_lo_u32 v14, v4, s11
	v_mad_u64_u32 v[4:5], s[4:5], v4, s10, 0
	v_mul_hi_u32 v17, v16, v11
	s_mov_b64 s[38:39], 0
	v_add3_u32 v5, v5, v14, v12
	v_sub_co_u32_e32 v14, vcc, v0, v4
	v_mul_lo_u32 v12, v17, s33
	v_subb_co_u32_e32 v15, vcc, v1, v5, vcc
	v_ashrrev_i32_e32 v4, 31, v13
	v_sub_u32_e32 v5, v16, v12
	v_add_u32_e32 v12, 1, v17
	v_cmp_le_u32_e32 vcc, s33, v5
	v_subrev_u32_e32 v13, s33, v5
	v_cndmask_b32_e32 v12, v17, v12, vcc
	v_cndmask_b32_e32 v5, v5, v13, vcc
	v_add_u32_e32 v13, 1, v12
	v_cmp_le_u32_e32 vcc, s33, v5
	v_cndmask_b32_e32 v5, v12, v13, vcc
	v_mul_lo_u32 v12, s46, v8
	v_mul_lo_u32 v13, s47, v9
	v_mad_u64_u32 v[8:9], s[4:5], s47, v8, 0
	v_xor_b32_e32 v4, s52, v4
	v_xor_b32_e32 v5, v5, v4
	v_add3_u32 v9, v9, v13, v12
	v_lshlrev_b64 v[8:9], 2, v[8:9]
	v_sub_u32_e32 v4, v5, v4
	v_mov_b32_e32 v5, s9
	v_add_co_u32_e32 v12, vcc, s8, v8
	v_addc_co_u32_e32 v13, vcc, v5, v9, vcc
	v_lshlrev_b64 v[8:9], 2, v[14:15]
	v_mul_lo_u32 v15, s21, v3
	v_add_co_u32_e32 v5, vcc, v12, v8
	v_addc_co_u32_e32 v8, vcc, v13, v9, vcc
	v_mul_lo_u32 v9, s17, v7
	v_add_u32_e32 v4, 1, v4
	v_min_i32_e32 v4, s17, v4
	v_cmp_lt_i32_e64 s[4:5], v3, v4
	v_add_u32_e32 v13, s53, v15
	v_add_u32_e32 v14, s54, v15
	v_sub_u32_e32 v15, s23, v15
	v_mov_b32_e32 v12, 0
	s_branch .LBB12_24
.LBB12_22:                              ;   in Loop: Header=BB12_24 Depth=2
	s_or_b64 exec, exec, s[42:43]
.LBB12_23:                              ;   in Loop: Header=BB12_24 Depth=2
	s_or_b64 exec, exec, s[40:41]
	v_add_u32_e32 v7, 1, v7
	v_cmp_ge_i32_e32 vcc, v7, v6
	s_or_b64 s[38:39], vcc, s[38:39]
	v_add_u32_e32 v9, s17, v9
	s_andn2_b64 exec, exec, s[38:39]
	s_cbranch_execz .LBB12_2
.LBB12_24:                              ;   Parent Loop BB12_4 Depth=1
                                        ; =>  This Loop Header: Depth=2
                                        ;       Child Loop BB12_27 Depth 3
	s_and_saveexec_b64 s[40:41], s[4:5]
	s_cbranch_execz .LBB12_23
; %bb.25:                               ;   in Loop: Header=BB12_24 Depth=2
	v_mul_lo_u32 v16, v7, s20
	s_mov_b64 s[42:43], 0
	v_mov_b32_e32 v20, v13
	v_mov_b32_e32 v21, v3
	v_subrev_u32_e32 v16, s22, v16
	v_add_u32_e32 v17, s18, v16
	v_min_i32_e32 v17, s48, v17
	v_max_i32_e32 v18, 0, v16
	v_min_i32_e32 v19, s12, v17
	v_sub_u32_e32 v16, v17, v16
	v_cmp_gt_i32_e64 s[6:7], v19, v18
	v_sub_u32_e32 v17, v19, v18
	v_mov_b32_e32 v18, v15
	v_mov_b32_e32 v19, v14
	s_branch .LBB12_27
.LBB12_26:                              ;   in Loop: Header=BB12_27 Depth=3
	s_or_b64 exec, exec, s[44:45]
	v_add_u32_e32 v21, 1, v21
	v_cmp_ge_i32_e32 vcc, v21, v4
	v_add_u32_e32 v20, s21, v20
	v_add_u32_e32 v19, s21, v19
	s_or_b64 s[42:43], vcc, s[42:43]
	v_subrev_u32_e32 v18, s21, v18
	s_andn2_b64 exec, exec, s[42:43]
	s_cbranch_execz .LBB12_22
.LBB12_27:                              ;   Parent Loop BB12_4 Depth=1
                                        ;     Parent Loop BB12_24 Depth=2
                                        ; =>    This Inner Loop Header: Depth=3
	v_add_u32_e32 v23, s19, v20
	v_mov_b32_e32 v24, s14
	v_max_i32_e32 v22, 0, v20
	v_min3_i32 v23, v23, s49, v24
	v_cmp_gt_i32_e32 vcc, v23, v22
	s_and_b64 s[56:57], s[6:7], vcc
	s_and_saveexec_b64 s[44:45], s[56:57]
	s_cbranch_execz .LBB12_26
; %bb.28:                               ;   in Loop: Header=BB12_27 Depth=3
	v_add_u32_e32 v24, v9, v21
	v_ashrrev_i32_e32 v26, 31, v24
	v_mul_lo_u32 v27, s11, v24
	v_mad_u64_u32 v[24:25], s[56:57], s10, v24, 0
	v_mul_lo_u32 v26, s10, v26
	v_sub_u32_e32 v22, v23, v22
	v_mul_lo_u32 v22, v22, v17
	v_add3_u32 v25, v25, v26, v27
	v_lshlrev_b64 v[24:25], 2, v[24:25]
	v_add_co_u32_e32 v24, vcc, v5, v24
	v_addc_co_u32_e32 v25, vcc, v8, v25, vcc
	global_load_dword v24, v[24:25], off
	v_min_i32_e32 v25, s49, v19
	v_add_u32_e32 v23, v25, v18
	v_mul_lo_u32 v23, v23, v16
	v_mov_b32_e32 v25, s26
	v_cndmask_b32_e64 v22, v22, v23, s[0:1]
	v_cndmask_b32_e64 v22, v22, v25, s[2:3]
	v_cvt_f32_i32_e32 v22, v22
	s_waitcnt vmcnt(0)
	v_div_scale_f32 v23, s[56:57], v22, v22, v24
	v_div_scale_f32 v25, vcc, v24, v22, v24
	v_rcp_f32_e32 v26, v23
	v_fma_f32 v27, -v23, v26, 1.0
	v_fmac_f32_e32 v26, v27, v26
	v_mul_f32_e32 v27, v25, v26
	v_fma_f32 v28, -v23, v27, v25
	v_fmac_f32_e32 v27, v28, v26
	v_fma_f32 v23, -v23, v27, v25
	v_div_fmas_f32 v23, v23, v26, v27
	v_div_fixup_f32 v22, v23, v22, v24
	v_add_f32_e32 v12, v12, v22
	s_branch .LBB12_26
.LBB12_29:
	s_endpgm
	.section	.rodata,"a",@progbits
	.p2align	6, 0x0
	.amdhsa_kernel _ZN2at6native12_GLOBAL__N_139avg_pool2d_backward_out_cuda_frame_nhwcIffiEEvT1_PKT_llliiiiiiiiPS4_ibb
		.amdhsa_group_segment_fixed_size 0
		.amdhsa_private_segment_fixed_size 0
		.amdhsa_kernarg_size 344
		.amdhsa_user_sgpr_count 6
		.amdhsa_user_sgpr_private_segment_buffer 1
		.amdhsa_user_sgpr_dispatch_ptr 0
		.amdhsa_user_sgpr_queue_ptr 0
		.amdhsa_user_sgpr_kernarg_segment_ptr 1
		.amdhsa_user_sgpr_dispatch_id 0
		.amdhsa_user_sgpr_flat_scratch_init 0
		.amdhsa_user_sgpr_private_segment_size 0
		.amdhsa_uses_dynamic_stack 0
		.amdhsa_system_sgpr_private_segment_wavefront_offset 0
		.amdhsa_system_sgpr_workgroup_id_x 1
		.amdhsa_system_sgpr_workgroup_id_y 0
		.amdhsa_system_sgpr_workgroup_id_z 0
		.amdhsa_system_sgpr_workgroup_info 0
		.amdhsa_system_vgpr_workitem_id 0
		.amdhsa_next_free_vgpr 29
		.amdhsa_next_free_sgpr 58
		.amdhsa_reserve_vcc 1
		.amdhsa_reserve_flat_scratch 0
		.amdhsa_float_round_mode_32 0
		.amdhsa_float_round_mode_16_64 0
		.amdhsa_float_denorm_mode_32 3
		.amdhsa_float_denorm_mode_16_64 3
		.amdhsa_dx10_clamp 1
		.amdhsa_ieee_mode 1
		.amdhsa_fp16_overflow 0
		.amdhsa_exception_fp_ieee_invalid_op 0
		.amdhsa_exception_fp_denorm_src 0
		.amdhsa_exception_fp_ieee_div_zero 0
		.amdhsa_exception_fp_ieee_overflow 0
		.amdhsa_exception_fp_ieee_underflow 0
		.amdhsa_exception_fp_ieee_inexact 0
		.amdhsa_exception_int_div_zero 0
	.end_amdhsa_kernel
	.section	.text._ZN2at6native12_GLOBAL__N_139avg_pool2d_backward_out_cuda_frame_nhwcIffiEEvT1_PKT_llliiiiiiiiPS4_ibb,"axG",@progbits,_ZN2at6native12_GLOBAL__N_139avg_pool2d_backward_out_cuda_frame_nhwcIffiEEvT1_PKT_llliiiiiiiiPS4_ibb,comdat
.Lfunc_end12:
	.size	_ZN2at6native12_GLOBAL__N_139avg_pool2d_backward_out_cuda_frame_nhwcIffiEEvT1_PKT_llliiiiiiiiPS4_ibb, .Lfunc_end12-_ZN2at6native12_GLOBAL__N_139avg_pool2d_backward_out_cuda_frame_nhwcIffiEEvT1_PKT_llliiiiiiiiPS4_ibb
                                        ; -- End function
	.set _ZN2at6native12_GLOBAL__N_139avg_pool2d_backward_out_cuda_frame_nhwcIffiEEvT1_PKT_llliiiiiiiiPS4_ibb.num_vgpr, 29
	.set _ZN2at6native12_GLOBAL__N_139avg_pool2d_backward_out_cuda_frame_nhwcIffiEEvT1_PKT_llliiiiiiiiPS4_ibb.num_agpr, 0
	.set _ZN2at6native12_GLOBAL__N_139avg_pool2d_backward_out_cuda_frame_nhwcIffiEEvT1_PKT_llliiiiiiiiPS4_ibb.numbered_sgpr, 58
	.set _ZN2at6native12_GLOBAL__N_139avg_pool2d_backward_out_cuda_frame_nhwcIffiEEvT1_PKT_llliiiiiiiiPS4_ibb.num_named_barrier, 0
	.set _ZN2at6native12_GLOBAL__N_139avg_pool2d_backward_out_cuda_frame_nhwcIffiEEvT1_PKT_llliiiiiiiiPS4_ibb.private_seg_size, 0
	.set _ZN2at6native12_GLOBAL__N_139avg_pool2d_backward_out_cuda_frame_nhwcIffiEEvT1_PKT_llliiiiiiiiPS4_ibb.uses_vcc, 1
	.set _ZN2at6native12_GLOBAL__N_139avg_pool2d_backward_out_cuda_frame_nhwcIffiEEvT1_PKT_llliiiiiiiiPS4_ibb.uses_flat_scratch, 0
	.set _ZN2at6native12_GLOBAL__N_139avg_pool2d_backward_out_cuda_frame_nhwcIffiEEvT1_PKT_llliiiiiiiiPS4_ibb.has_dyn_sized_stack, 0
	.set _ZN2at6native12_GLOBAL__N_139avg_pool2d_backward_out_cuda_frame_nhwcIffiEEvT1_PKT_llliiiiiiiiPS4_ibb.has_recursion, 0
	.set _ZN2at6native12_GLOBAL__N_139avg_pool2d_backward_out_cuda_frame_nhwcIffiEEvT1_PKT_llliiiiiiiiPS4_ibb.has_indirect_call, 0
	.section	.AMDGPU.csdata,"",@progbits
; Kernel info:
; codeLenInByte = 3528
; TotalNumSgprs: 62
; NumVgprs: 29
; ScratchSize: 0
; MemoryBound: 0
; FloatMode: 240
; IeeeMode: 1
; LDSByteSize: 0 bytes/workgroup (compile time only)
; SGPRBlocks: 7
; VGPRBlocks: 7
; NumSGPRsForWavesPerEU: 62
; NumVGPRsForWavesPerEU: 29
; Occupancy: 8
; WaveLimiterHint : 0
; COMPUTE_PGM_RSRC2:SCRATCH_EN: 0
; COMPUTE_PGM_RSRC2:USER_SGPR: 6
; COMPUTE_PGM_RSRC2:TRAP_HANDLER: 0
; COMPUTE_PGM_RSRC2:TGID_X_EN: 1
; COMPUTE_PGM_RSRC2:TGID_Y_EN: 0
; COMPUTE_PGM_RSRC2:TGID_Z_EN: 0
; COMPUTE_PGM_RSRC2:TIDIG_COMP_CNT: 0
	.section	.text._ZN2at6native12_GLOBAL__N_134avg_pool2d_backward_out_cuda_frameIffiEEvT1_PKT_llllliiiiiiPS4_ibb,"axG",@progbits,_ZN2at6native12_GLOBAL__N_134avg_pool2d_backward_out_cuda_frameIffiEEvT1_PKT_llllliiiiiiPS4_ibb,comdat
	.globl	_ZN2at6native12_GLOBAL__N_134avg_pool2d_backward_out_cuda_frameIffiEEvT1_PKT_llllliiiiiiPS4_ibb ; -- Begin function _ZN2at6native12_GLOBAL__N_134avg_pool2d_backward_out_cuda_frameIffiEEvT1_PKT_llllliiiiiiPS4_ibb
	.p2align	8
	.type	_ZN2at6native12_GLOBAL__N_134avg_pool2d_backward_out_cuda_frameIffiEEvT1_PKT_llllliiiiiiPS4_ibb,@function
_ZN2at6native12_GLOBAL__N_134avg_pool2d_backward_out_cuda_frameIffiEEvT1_PKT_llllliiiiiiPS4_ibb: ; @_ZN2at6native12_GLOBAL__N_134avg_pool2d_backward_out_cuda_frameIffiEEvT1_PKT_llllliiiiiiPS4_ibb
; %bb.0:
	s_load_dword s24, s[4:5], 0x0
	s_load_dword s0, s[4:5], 0x6c
	v_mov_b32_e32 v2, 0
	v_mov_b32_e32 v1, v2
	;; [unrolled: 1-line block ×3, first 2 shown]
	s_waitcnt lgkmcnt(0)
	s_ashr_i32 s25, s24, 31
	s_add_u32 s30, s4, 0x60
	s_addc_u32 s31, s5, 0
	s_and_b32 s7, s0, 0xffff
	v_mad_u64_u32 v[0:1], s[0:1], s7, v3, v[0:1]
	v_cmp_gt_i64_e32 vcc, s[24:25], v[0:1]
	s_and_saveexec_b64 s[0:1], vcc
	s_cbranch_execz .LBB13_25
; %bb.1:
	s_load_dwordx2 s[26:27], s[4:5], 0x58
	s_load_dword s2, s[4:5], 0x5c
	s_load_dwordx8 s[8:15], s[4:5], 0x18
	s_load_dwordx8 s[16:23], s[4:5], 0x38
	s_load_dwordx2 s[28:29], s[4:5], 0x8
	s_waitcnt lgkmcnt(0)
	s_bitcmp1_b32 s27, 0
	s_cselect_b64 s[0:1], -1, 0
	s_bitcmp1_b32 s2, 8
	s_cselect_b64 s[2:3], -1, 0
	s_abs_i32 s27, s18
	v_cvt_f32_u32_e32 v3, s27
	s_abs_i32 s33, s19
	v_cvt_f32_u32_e32 v4, s33
	s_sub_i32 s5, 0, s27
	v_rcp_iflag_f32_e32 v3, v3
	s_load_dword s4, s[30:31], 0x0
	v_rcp_iflag_f32_e32 v4, v4
	s_add_i32 s50, s20, s8
	v_mul_f32_e32 v3, 0x4f7ffffe, v3
	v_cvt_u32_f32_e32 v3, v3
	v_mul_f32_e32 v4, 0x4f7ffffe, v4
	v_cvt_u32_f32_e32 v4, v4
	s_add_i32 s51, s21, s10
	v_mul_lo_u32 v5, s5, v3
	s_sub_i32 s5, 0, s33
	v_mul_lo_u32 v6, s5, v4
	s_waitcnt lgkmcnt(0)
	s_mul_i32 s52, s4, s7
	v_mul_hi_u32 v5, v3, v5
	s_ashr_i32 s53, s18, 31
	v_mul_hi_u32 v6, v4, v6
	s_ashr_i32 s54, s19, 31
	v_add_u32_e32 v10, v3, v5
	s_lshl_b64 s[30:31], s[12:13], 2
	v_add_u32_e32 v11, v4, v6
	s_lshl_b64 s[34:35], s[14:15], 2
	s_sub_i32 s13, 0, s21
	s_sub_i32 s55, s17, s21
	s_mov_b64 s[36:37], 0
	s_ashr_i32 s38, s11, 31
	s_branch .LBB13_4
.LBB13_2:                               ;   in Loop: Header=BB13_4 Depth=1
	s_or_b64 exec, exec, s[42:43]
.LBB13_3:                               ;   in Loop: Header=BB13_4 Depth=1
	s_or_b64 exec, exec, s[40:41]
	v_lshlrev_b64 v[5:6], 2, v[0:1]
	v_add_co_u32_e32 v0, vcc, s52, v0
	v_addc_co_u32_e32 v1, vcc, 0, v1, vcc
	v_cmp_le_i64_e32 vcc, s[24:25], v[0:1]
	v_mov_b32_e32 v3, s23
	v_add_co_u32_e64 v5, s[4:5], s22, v5
	v_addc_co_u32_e64 v6, s[4:5], v3, v6, s[4:5]
	s_or_b64 s[36:37], vcc, s[36:37]
	global_store_dword v[5:6], v4, off
	s_andn2_b64 exec, exec, s[36:37]
	s_cbranch_execz .LBB13_25
.LBB13_4:                               ; =>This Loop Header: Depth=1
                                        ;     Child Loop BB13_20 Depth 2
                                        ;       Child Loop BB13_23 Depth 3
	v_or_b32_e32 v3, s11, v1
	v_cmp_ne_u64_e32 vcc, 0, v[2:3]
                                        ; implicit-def: $vgpr4_vgpr5
	s_and_saveexec_b64 s[4:5], vcc
	s_xor_b64 s[6:7], exec, s[4:5]
	s_cbranch_execz .LBB13_6
; %bb.5:                                ;   in Loop: Header=BB13_4 Depth=1
	s_add_u32 s4, s10, s38
	s_mov_b32 s39, s38
	s_addc_u32 s5, s11, s38
	s_xor_b64 s[40:41], s[4:5], s[38:39]
	v_cvt_f32_u32_e32 v3, s40
	v_cvt_f32_u32_e32 v4, s41
	s_sub_u32 s39, 0, s40
	s_subb_u32 s42, 0, s41
	v_ashrrev_i32_e32 v7, 31, v1
	v_mac_f32_e32 v3, 0x4f800000, v4
	v_rcp_f32_e32 v3, v3
	v_mul_f32_e32 v3, 0x5f7ffffc, v3
	v_mul_f32_e32 v4, 0x2f800000, v3
	v_trunc_f32_e32 v4, v4
	v_mac_f32_e32 v3, 0xcf800000, v4
	v_cvt_u32_f32_e32 v4, v4
	v_cvt_u32_f32_e32 v3, v3
	v_readfirstlane_b32 s43, v4
	v_readfirstlane_b32 s4, v3
	s_mul_i32 s5, s39, s43
	s_mul_hi_u32 s45, s39, s4
	s_mul_i32 s44, s42, s4
	s_add_i32 s5, s45, s5
	s_add_i32 s5, s5, s44
	s_mul_i32 s46, s39, s4
	s_mul_i32 s45, s4, s5
	s_mul_hi_u32 s47, s4, s46
	s_mul_hi_u32 s44, s4, s5
	s_add_u32 s45, s47, s45
	s_addc_u32 s44, 0, s44
	s_mul_hi_u32 s48, s43, s46
	s_mul_i32 s46, s43, s46
	s_add_u32 s45, s45, s46
	s_mul_hi_u32 s47, s43, s5
	s_addc_u32 s44, s44, s48
	s_addc_u32 s45, s47, 0
	s_mul_i32 s5, s43, s5
	s_add_u32 s5, s44, s5
	s_addc_u32 s44, 0, s45
	s_add_u32 s45, s4, s5
	s_cselect_b64 s[4:5], -1, 0
	s_cmp_lg_u64 s[4:5], 0
	s_addc_u32 s43, s43, s44
	s_mul_i32 s4, s39, s43
	s_mul_hi_u32 s5, s39, s45
	s_add_i32 s4, s5, s4
	s_mul_i32 s42, s42, s45
	s_add_i32 s4, s4, s42
	s_mul_i32 s39, s39, s45
	s_mul_hi_u32 s42, s43, s39
	s_mul_i32 s44, s43, s39
	s_mul_i32 s47, s45, s4
	s_mul_hi_u32 s39, s45, s39
	s_mul_hi_u32 s46, s45, s4
	s_add_u32 s39, s39, s47
	s_addc_u32 s46, 0, s46
	s_add_u32 s39, s39, s44
	s_mul_hi_u32 s5, s43, s4
	s_addc_u32 s39, s46, s42
	s_addc_u32 s5, s5, 0
	s_mul_i32 s4, s43, s4
	s_add_u32 s4, s39, s4
	s_addc_u32 s39, 0, s5
	s_add_u32 s42, s45, s4
	s_cselect_b64 s[4:5], -1, 0
	s_cmp_lg_u64 s[4:5], 0
	v_add_co_u32_e32 v3, vcc, v0, v7
	s_addc_u32 s39, s43, s39
	v_xor_b32_e32 v8, v3, v7
	v_mad_u64_u32 v[3:4], s[4:5], v8, s39, 0
	v_mul_hi_u32 v6, v8, s42
	v_addc_co_u32_e32 v5, vcc, v1, v7, vcc
	v_xor_b32_e32 v9, v5, v7
	v_add_co_u32_e32 v12, vcc, v6, v3
	v_addc_co_u32_e32 v13, vcc, 0, v4, vcc
	v_mad_u64_u32 v[3:4], s[4:5], v9, s42, 0
	v_mad_u64_u32 v[5:6], s[4:5], v9, s39, 0
	v_add_co_u32_e32 v3, vcc, v12, v3
	v_addc_co_u32_e32 v3, vcc, v13, v4, vcc
	v_addc_co_u32_e32 v4, vcc, 0, v6, vcc
	v_add_co_u32_e32 v5, vcc, v3, v5
	v_addc_co_u32_e32 v6, vcc, 0, v4, vcc
	v_mul_lo_u32 v12, s41, v5
	v_mul_lo_u32 v13, s40, v6
	v_mad_u64_u32 v[3:4], s[4:5], s40, v5, 0
	v_add3_u32 v4, v4, v13, v12
	v_sub_u32_e32 v12, v9, v4
	v_mov_b32_e32 v13, s41
	v_sub_co_u32_e32 v3, vcc, v8, v3
	v_subb_co_u32_e64 v8, s[4:5], v12, v13, vcc
	v_subrev_co_u32_e64 v12, s[4:5], s40, v3
	v_subbrev_co_u32_e64 v8, s[4:5], 0, v8, s[4:5]
	v_cmp_le_u32_e64 s[4:5], s41, v8
	v_cndmask_b32_e64 v13, 0, -1, s[4:5]
	v_cmp_le_u32_e64 s[4:5], s40, v12
	v_cndmask_b32_e64 v12, 0, -1, s[4:5]
	v_cmp_eq_u32_e64 s[4:5], s41, v8
	v_cndmask_b32_e64 v8, v13, v12, s[4:5]
	v_add_co_u32_e64 v12, s[4:5], 2, v5
	v_subb_co_u32_e32 v4, vcc, v9, v4, vcc
	v_addc_co_u32_e64 v13, s[4:5], 0, v6, s[4:5]
	v_cmp_le_u32_e32 vcc, s41, v4
	v_add_co_u32_e64 v14, s[4:5], 1, v5
	v_cndmask_b32_e64 v9, 0, -1, vcc
	v_cmp_le_u32_e32 vcc, s40, v3
	v_addc_co_u32_e64 v15, s[4:5], 0, v6, s[4:5]
	v_cndmask_b32_e64 v3, 0, -1, vcc
	v_cmp_eq_u32_e32 vcc, s41, v4
	v_cmp_ne_u32_e64 s[4:5], 0, v8
	v_cndmask_b32_e32 v3, v9, v3, vcc
	v_cmp_ne_u32_e32 vcc, 0, v3
	v_cndmask_b32_e64 v4, v14, v12, s[4:5]
	v_cndmask_b32_e64 v8, v15, v13, s[4:5]
	v_cndmask_b32_e32 v4, v5, v4, vcc
	v_xor_b32_e32 v5, s38, v7
	v_cndmask_b32_e32 v3, v6, v8, vcc
	v_xor_b32_e32 v4, v4, v5
	v_xor_b32_e32 v3, v3, v5
	v_sub_co_u32_e32 v4, vcc, v4, v5
	v_subb_co_u32_e32 v5, vcc, v3, v5, vcc
.LBB13_6:                               ;   in Loop: Header=BB13_4 Depth=1
	s_andn2_saveexec_b64 s[4:5], s[6:7]
	s_cbranch_execz .LBB13_8
; %bb.7:                                ;   in Loop: Header=BB13_4 Depth=1
	v_cvt_f32_u32_e32 v3, s10
	s_sub_i32 s6, 0, s10
	v_rcp_iflag_f32_e32 v3, v3
	v_mul_f32_e32 v3, 0x4f7ffffe, v3
	v_cvt_u32_f32_e32 v3, v3
	v_mul_lo_u32 v4, s6, v3
	v_mul_hi_u32 v4, v3, v4
	v_add_u32_e32 v3, v3, v4
	v_mul_hi_u32 v3, v0, v3
	v_mul_lo_u32 v4, v3, s10
	v_add_u32_e32 v5, 1, v3
	v_sub_u32_e32 v4, v0, v4
	v_subrev_u32_e32 v6, s10, v4
	v_cmp_le_u32_e32 vcc, s10, v4
	v_cndmask_b32_e32 v4, v4, v6, vcc
	v_cndmask_b32_e32 v3, v3, v5, vcc
	v_add_u32_e32 v5, 1, v3
	v_cmp_le_u32_e32 vcc, s10, v4
	v_cndmask_b32_e32 v4, v3, v5, vcc
	v_mov_b32_e32 v5, v2
.LBB13_8:                               ;   in Loop: Header=BB13_4 Depth=1
	s_or_b64 exec, exec, s[4:5]
	v_or_b32_e32 v3, s9, v5
	v_cmp_ne_u64_e32 vcc, 0, v[2:3]
                                        ; implicit-def: $vgpr7_vgpr8
	s_and_saveexec_b64 s[4:5], vcc
	s_xor_b64 s[6:7], exec, s[4:5]
	s_cbranch_execz .LBB13_10
; %bb.9:                                ;   in Loop: Header=BB13_4 Depth=1
	s_ashr_i32 s40, s9, 31
	s_add_u32 s4, s8, s40
	s_mov_b32 s41, s40
	s_addc_u32 s5, s9, s40
	s_xor_b64 s[42:43], s[4:5], s[40:41]
	v_cvt_f32_u32_e32 v3, s42
	v_cvt_f32_u32_e32 v6, s43
	s_sub_u32 s39, 0, s42
	s_subb_u32 s41, 0, s43
	v_mac_f32_e32 v3, 0x4f800000, v6
	v_rcp_f32_e32 v3, v3
	v_mul_f32_e32 v3, 0x5f7ffffc, v3
	v_mul_f32_e32 v6, 0x2f800000, v3
	v_trunc_f32_e32 v6, v6
	v_mac_f32_e32 v3, 0xcf800000, v6
	v_cvt_u32_f32_e32 v6, v6
	v_cvt_u32_f32_e32 v3, v3
	v_readfirstlane_b32 s44, v6
	v_readfirstlane_b32 s4, v3
	s_mul_i32 s5, s39, s44
	s_mul_hi_u32 s46, s39, s4
	s_mul_i32 s45, s41, s4
	s_add_i32 s5, s46, s5
	s_add_i32 s5, s5, s45
	s_mul_i32 s47, s39, s4
	s_mul_i32 s46, s4, s5
	s_mul_hi_u32 s48, s4, s47
	s_mul_hi_u32 s45, s4, s5
	s_add_u32 s46, s48, s46
	s_addc_u32 s45, 0, s45
	s_mul_hi_u32 s49, s44, s47
	s_mul_i32 s47, s44, s47
	s_add_u32 s46, s46, s47
	s_mul_hi_u32 s48, s44, s5
	s_addc_u32 s45, s45, s49
	s_addc_u32 s46, s48, 0
	s_mul_i32 s5, s44, s5
	s_add_u32 s5, s45, s5
	s_addc_u32 s45, 0, s46
	s_add_u32 s46, s4, s5
	s_cselect_b64 s[4:5], -1, 0
	s_cmp_lg_u64 s[4:5], 0
	s_addc_u32 s44, s44, s45
	s_mul_i32 s4, s39, s44
	s_mul_hi_u32 s5, s39, s46
	s_add_i32 s4, s5, s4
	s_mul_i32 s41, s41, s46
	s_add_i32 s4, s4, s41
	s_mul_i32 s39, s39, s46
	s_mul_hi_u32 s41, s44, s39
	s_mul_i32 s45, s44, s39
	s_mul_i32 s48, s46, s4
	s_mul_hi_u32 s39, s46, s39
	s_mul_hi_u32 s47, s46, s4
	s_add_u32 s39, s39, s48
	s_addc_u32 s47, 0, s47
	s_add_u32 s39, s39, s45
	s_mul_hi_u32 s5, s44, s4
	s_addc_u32 s39, s47, s41
	s_addc_u32 s5, s5, 0
	s_mul_i32 s4, s44, s4
	s_add_u32 s4, s39, s4
	s_addc_u32 s39, 0, s5
	s_add_u32 s41, s46, s4
	s_cselect_b64 s[4:5], -1, 0
	v_ashrrev_i32_e32 v3, 31, v5
	s_cmp_lg_u64 s[4:5], 0
	v_add_co_u32_e32 v6, vcc, v4, v3
	s_addc_u32 s39, s44, s39
	v_xor_b32_e32 v9, v6, v3
	v_addc_co_u32_e32 v7, vcc, v5, v3, vcc
	v_mad_u64_u32 v[5:6], s[4:5], v9, s39, 0
	v_mul_hi_u32 v8, v9, s41
	v_xor_b32_e32 v12, v7, v3
	v_xor_b32_e32 v3, s40, v3
	v_add_co_u32_e32 v13, vcc, v8, v5
	v_addc_co_u32_e32 v14, vcc, 0, v6, vcc
	v_mad_u64_u32 v[5:6], s[4:5], v12, s41, 0
	v_mad_u64_u32 v[7:8], s[4:5], v12, s39, 0
	v_add_co_u32_e32 v5, vcc, v13, v5
	v_addc_co_u32_e32 v5, vcc, v14, v6, vcc
	v_addc_co_u32_e32 v6, vcc, 0, v8, vcc
	v_add_co_u32_e32 v7, vcc, v5, v7
	v_addc_co_u32_e32 v8, vcc, 0, v6, vcc
	v_mul_lo_u32 v13, s43, v7
	v_mul_lo_u32 v14, s42, v8
	v_mad_u64_u32 v[5:6], s[4:5], s42, v7, 0
	v_add3_u32 v6, v6, v14, v13
	v_sub_u32_e32 v13, v12, v6
	v_mov_b32_e32 v14, s43
	v_sub_co_u32_e32 v5, vcc, v9, v5
	v_subb_co_u32_e64 v9, s[4:5], v13, v14, vcc
	v_subrev_co_u32_e64 v13, s[4:5], s42, v5
	v_subbrev_co_u32_e64 v9, s[4:5], 0, v9, s[4:5]
	v_cmp_le_u32_e64 s[4:5], s43, v9
	v_cndmask_b32_e64 v14, 0, -1, s[4:5]
	v_cmp_le_u32_e64 s[4:5], s42, v13
	v_cndmask_b32_e64 v13, 0, -1, s[4:5]
	v_cmp_eq_u32_e64 s[4:5], s43, v9
	v_cndmask_b32_e64 v9, v14, v13, s[4:5]
	v_add_co_u32_e64 v13, s[4:5], 2, v7
	v_subb_co_u32_e32 v6, vcc, v12, v6, vcc
	v_addc_co_u32_e64 v14, s[4:5], 0, v8, s[4:5]
	v_cmp_le_u32_e32 vcc, s43, v6
	v_add_co_u32_e64 v15, s[4:5], 1, v7
	v_cndmask_b32_e64 v12, 0, -1, vcc
	v_cmp_le_u32_e32 vcc, s42, v5
	v_addc_co_u32_e64 v16, s[4:5], 0, v8, s[4:5]
	v_cndmask_b32_e64 v5, 0, -1, vcc
	v_cmp_eq_u32_e32 vcc, s43, v6
	v_cmp_ne_u32_e64 s[4:5], 0, v9
	v_cndmask_b32_e32 v5, v12, v5, vcc
	v_cmp_ne_u32_e32 vcc, 0, v5
	v_cndmask_b32_e64 v6, v15, v13, s[4:5]
	v_cndmask_b32_e64 v9, v16, v14, s[4:5]
	v_cndmask_b32_e32 v6, v7, v6, vcc
	v_cndmask_b32_e32 v5, v8, v9, vcc
	v_xor_b32_e32 v6, v6, v3
	v_xor_b32_e32 v5, v5, v3
	v_sub_co_u32_e32 v7, vcc, v6, v3
	v_subb_co_u32_e32 v8, vcc, v5, v3, vcc
.LBB13_10:                              ;   in Loop: Header=BB13_4 Depth=1
	s_andn2_saveexec_b64 s[4:5], s[6:7]
	s_cbranch_execz .LBB13_12
; %bb.11:                               ;   in Loop: Header=BB13_4 Depth=1
	v_cvt_f32_u32_e32 v3, s8
	s_sub_i32 s6, 0, s8
	v_mov_b32_e32 v8, v2
	v_rcp_iflag_f32_e32 v3, v3
	v_mul_f32_e32 v3, 0x4f7ffffe, v3
	v_cvt_u32_f32_e32 v3, v3
	v_mul_lo_u32 v5, s6, v3
	v_mul_hi_u32 v5, v3, v5
	v_add_u32_e32 v3, v3, v5
	v_mul_hi_u32 v3, v4, v3
	v_mul_lo_u32 v5, v3, s8
	v_add_u32_e32 v6, 1, v3
	v_sub_u32_e32 v5, v4, v5
	v_subrev_u32_e32 v7, s8, v5
	v_cmp_le_u32_e32 vcc, s8, v5
	v_cndmask_b32_e32 v5, v5, v7, vcc
	v_cndmask_b32_e32 v3, v3, v6, vcc
	v_add_u32_e32 v6, 1, v3
	v_cmp_le_u32_e32 vcc, s8, v5
	v_cndmask_b32_e32 v7, v3, v6, vcc
.LBB13_12:                              ;   in Loop: Header=BB13_4 Depth=1
	s_or_b64 exec, exec, s[4:5]
	v_mul_lo_u32 v5, v7, s8
	v_mov_b32_e32 v3, 0
	v_sub_u32_e32 v5, v4, v5
	v_add_u32_e32 v6, s20, v5
	v_cmp_le_i32_e32 vcc, s16, v6
	v_mov_b32_e32 v5, 0
	s_and_saveexec_b64 s[4:5], vcc
	s_cbranch_execz .LBB13_14
; %bb.13:                               ;   in Loop: Header=BB13_4 Depth=1
	v_subrev_u32_e32 v5, s16, v6
	v_mul_hi_u32 v9, v5, v10
	v_mul_lo_u32 v12, v9, s27
	v_add_u32_e32 v13, 1, v9
	v_sub_u32_e32 v5, v5, v12
	v_cmp_le_u32_e32 vcc, s27, v5
	v_subrev_u32_e32 v12, s27, v5
	v_cndmask_b32_e32 v9, v9, v13, vcc
	v_cndmask_b32_e32 v5, v5, v12, vcc
	v_add_u32_e32 v12, 1, v9
	v_cmp_le_u32_e32 vcc, s27, v5
	v_cndmask_b32_e32 v5, v9, v12, vcc
	v_xor_b32_e32 v5, s53, v5
	v_subrev_u32_e32 v5, s53, v5
	v_add_u32_e32 v5, 1, v5
.LBB13_14:                              ;   in Loop: Header=BB13_4 Depth=1
	s_or_b64 exec, exec, s[4:5]
	v_mul_lo_u32 v4, v4, s10
	v_sub_u32_e32 v4, v0, v4
	v_add_u32_e32 v9, s21, v4
	v_cmp_le_i32_e32 vcc, s17, v9
	s_and_saveexec_b64 s[4:5], vcc
	s_cbranch_execz .LBB13_16
; %bb.15:                               ;   in Loop: Header=BB13_4 Depth=1
	v_subrev_u32_e32 v3, s17, v9
	v_mul_hi_u32 v4, v3, v11
	v_mul_lo_u32 v12, v4, s33
	v_add_u32_e32 v13, 1, v4
	v_sub_u32_e32 v3, v3, v12
	v_cmp_le_u32_e32 vcc, s33, v3
	v_subrev_u32_e32 v12, s33, v3
	v_cndmask_b32_e32 v4, v4, v13, vcc
	v_cndmask_b32_e32 v3, v3, v12, vcc
	v_add_u32_e32 v12, 1, v4
	v_cmp_le_u32_e32 vcc, s33, v3
	v_cndmask_b32_e32 v3, v4, v12, vcc
	v_xor_b32_e32 v3, s54, v3
	v_subrev_u32_e32 v3, s54, v3
	v_add_u32_e32 v3, 1, v3
.LBB13_16:                              ;   in Loop: Header=BB13_4 Depth=1
	s_or_b64 exec, exec, s[4:5]
	v_sub_u32_e32 v4, 0, v6
	v_max_i32_e32 v4, v6, v4
	v_mul_hi_u32 v12, v4, v10
	v_ashrrev_i32_e32 v6, 31, v6
	v_xor_b32_e32 v6, s53, v6
	v_mul_lo_u32 v13, v12, s27
	v_add_u32_e32 v14, 1, v12
	v_sub_u32_e32 v4, v4, v13
	v_cmp_le_u32_e32 vcc, s27, v4
	v_subrev_u32_e32 v13, s27, v4
	v_cndmask_b32_e32 v12, v12, v14, vcc
	v_cndmask_b32_e32 v4, v4, v13, vcc
	v_add_u32_e32 v13, 1, v12
	v_cmp_le_u32_e32 vcc, s27, v4
	v_cndmask_b32_e32 v4, v12, v13, vcc
	v_xor_b32_e32 v4, v4, v6
	v_sub_u32_e32 v4, v4, v6
	v_add_u32_e32 v4, 1, v4
	v_min_i32_e32 v12, s12, v4
	v_cmp_lt_i32_e32 vcc, v5, v12
	v_mov_b32_e32 v4, 0
	s_and_saveexec_b64 s[40:41], vcc
	s_cbranch_execz .LBB13_3
; %bb.17:                               ;   in Loop: Header=BB13_4 Depth=1
	v_sub_u32_e32 v4, 0, v9
	v_max_i32_e32 v4, v9, v4
	v_mul_hi_u32 v6, v4, v11
	v_ashrrev_i32_e32 v9, 31, v9
	v_mul_lo_u32 v8, s30, v8
	v_mul_lo_u32 v17, s31, v7
	;; [unrolled: 1-line block ×3, first 2 shown]
	v_add_u32_e32 v14, 1, v6
	v_xor_b32_e32 v9, s54, v9
	s_mov_b64 s[42:43], 0
	v_sub_u32_e32 v4, v4, v13
	v_cmp_le_u32_e32 vcc, s33, v4
	v_cndmask_b32_e32 v15, v6, v14, vcc
	v_subrev_u32_e32 v6, s33, v4
	v_cndmask_b32_e32 v4, v4, v6, vcc
	v_ashrrev_i32_e32 v6, 31, v5
	v_lshlrev_b64 v[13:14], 2, v[5:6]
	v_add_u32_e32 v16, 1, v15
	v_mad_u64_u32 v[6:7], s[4:5], s30, v7, v[13:14]
	v_cmp_le_u32_e32 vcc, s33, v4
	v_cndmask_b32_e32 v4, v15, v16, vcc
	v_xor_b32_e32 v4, v4, v9
	v_sub_u32_e32 v9, v4, v9
	v_ashrrev_i32_e32 v4, 31, v3
	v_add3_u32 v13, v17, v7, v8
	v_lshlrev_b64 v[7:8], 2, v[3:4]
	v_mul_lo_u32 v4, s14, v13
	v_mad_u64_u32 v[7:8], s[4:5], s14, v6, v[7:8]
	v_mul_lo_u32 v6, s15, v6
	v_add_u32_e32 v9, 1, v9
	v_min_i32_e32 v13, s14, v9
	v_mul_lo_u32 v9, s19, v3
	v_add3_u32 v4, v6, v8, v4
	v_mov_b32_e32 v8, s29
	v_add_co_u32_e32 v6, vcc, s28, v7
	v_cmp_lt_i32_e64 s[4:5], v3, v13
	v_addc_co_u32_e32 v7, vcc, v8, v4, vcc
	v_add_u32_e32 v14, s13, v9
	v_add_u32_e32 v15, s55, v9
	v_sub_u32_e32 v16, s21, v9
	v_mov_b32_e32 v4, 0
	s_branch .LBB13_20
.LBB13_18:                              ;   in Loop: Header=BB13_20 Depth=2
	s_or_b64 exec, exec, s[46:47]
.LBB13_19:                              ;   in Loop: Header=BB13_20 Depth=2
	s_or_b64 exec, exec, s[44:45]
	v_add_u32_e32 v5, 1, v5
	v_cmp_ge_i32_e32 vcc, v5, v12
	v_mov_b32_e32 v8, s35
	s_or_b64 s[42:43], vcc, s[42:43]
	v_add_co_u32_e32 v6, vcc, s34, v6
	v_addc_co_u32_e32 v7, vcc, v7, v8, vcc
	s_andn2_b64 exec, exec, s[42:43]
	s_cbranch_execz .LBB13_2
.LBB13_20:                              ;   Parent Loop BB13_4 Depth=1
                                        ; =>  This Loop Header: Depth=2
                                        ;       Child Loop BB13_23 Depth 3
	s_and_saveexec_b64 s[44:45], s[4:5]
	s_cbranch_execz .LBB13_19
; %bb.21:                               ;   in Loop: Header=BB13_20 Depth=2
	v_mul_lo_u32 v8, v5, s18
	s_mov_b64 s[46:47], 0
	v_mov_b32_e32 v20, v15
	v_mov_b32_e32 v21, v14
	v_subrev_u32_e32 v8, s20, v8
	v_add_u32_e32 v9, s16, v8
	v_min_i32_e32 v9, s50, v9
	v_max_i32_e32 v18, 0, v8
	v_min_i32_e32 v19, s8, v9
	v_sub_u32_e32 v17, v9, v8
	v_mov_b32_e32 v9, v7
	v_cmp_gt_i32_e64 s[6:7], v19, v18
	v_sub_u32_e32 v18, v19, v18
	v_mov_b32_e32 v19, v16
	v_mov_b32_e32 v8, v6
	;; [unrolled: 1-line block ×3, first 2 shown]
	s_branch .LBB13_23
.LBB13_22:                              ;   in Loop: Header=BB13_23 Depth=3
	s_or_b64 exec, exec, s[48:49]
	v_add_co_u32_e32 v8, vcc, 4, v8
	v_add_u32_e32 v22, 1, v22
	v_addc_co_u32_e32 v9, vcc, 0, v9, vcc
	v_cmp_ge_i32_e32 vcc, v22, v13
	v_add_u32_e32 v21, s19, v21
	v_add_u32_e32 v20, s19, v20
	s_or_b64 s[46:47], vcc, s[46:47]
	v_subrev_u32_e32 v19, s19, v19
	s_andn2_b64 exec, exec, s[46:47]
	s_cbranch_execz .LBB13_18
.LBB13_23:                              ;   Parent Loop BB13_4 Depth=1
                                        ;     Parent Loop BB13_20 Depth=2
                                        ; =>    This Inner Loop Header: Depth=3
	v_add_u32_e32 v24, s17, v21
	v_mov_b32_e32 v25, s10
	v_max_i32_e32 v23, 0, v21
	v_min3_i32 v24, v24, s51, v25
	v_cmp_gt_i32_e32 vcc, v24, v23
	s_and_b64 s[56:57], s[6:7], vcc
	s_and_saveexec_b64 s[48:49], s[56:57]
	s_cbranch_execz .LBB13_22
; %bb.24:                               ;   in Loop: Header=BB13_23 Depth=3
	global_load_dword v25, v[8:9], off
	v_min_i32_e32 v26, s51, v20
	v_sub_u32_e32 v23, v24, v23
	v_add_u32_e32 v24, v26, v19
	v_mul_lo_u32 v23, v23, v18
	v_mul_lo_u32 v24, v24, v17
	v_mov_b32_e32 v26, s26
	v_cndmask_b32_e64 v23, v23, v24, s[0:1]
	v_cndmask_b32_e64 v23, v23, v26, s[2:3]
	v_cvt_f32_i32_e32 v23, v23
	s_waitcnt vmcnt(0)
	v_div_scale_f32 v24, s[56:57], v23, v23, v25
	v_div_scale_f32 v26, vcc, v25, v23, v25
	v_rcp_f32_e32 v27, v24
	v_fma_f32 v28, -v24, v27, 1.0
	v_fmac_f32_e32 v27, v28, v27
	v_mul_f32_e32 v28, v26, v27
	v_fma_f32 v29, -v24, v28, v26
	v_fmac_f32_e32 v28, v29, v27
	v_fma_f32 v24, -v24, v28, v26
	v_div_fmas_f32 v24, v24, v27, v28
	v_div_fixup_f32 v23, v24, v23, v25
	v_add_f32_e32 v4, v4, v23
	s_branch .LBB13_22
.LBB13_25:
	s_endpgm
	.section	.rodata,"a",@progbits
	.p2align	6, 0x0
	.amdhsa_kernel _ZN2at6native12_GLOBAL__N_134avg_pool2d_backward_out_cuda_frameIffiEEvT1_PKT_llllliiiiiiPS4_ibb
		.amdhsa_group_segment_fixed_size 0
		.amdhsa_private_segment_fixed_size 0
		.amdhsa_kernarg_size 352
		.amdhsa_user_sgpr_count 6
		.amdhsa_user_sgpr_private_segment_buffer 1
		.amdhsa_user_sgpr_dispatch_ptr 0
		.amdhsa_user_sgpr_queue_ptr 0
		.amdhsa_user_sgpr_kernarg_segment_ptr 1
		.amdhsa_user_sgpr_dispatch_id 0
		.amdhsa_user_sgpr_flat_scratch_init 0
		.amdhsa_user_sgpr_private_segment_size 0
		.amdhsa_uses_dynamic_stack 0
		.amdhsa_system_sgpr_private_segment_wavefront_offset 0
		.amdhsa_system_sgpr_workgroup_id_x 1
		.amdhsa_system_sgpr_workgroup_id_y 0
		.amdhsa_system_sgpr_workgroup_id_z 0
		.amdhsa_system_sgpr_workgroup_info 0
		.amdhsa_system_vgpr_workitem_id 0
		.amdhsa_next_free_vgpr 30
		.amdhsa_next_free_sgpr 58
		.amdhsa_reserve_vcc 1
		.amdhsa_reserve_flat_scratch 0
		.amdhsa_float_round_mode_32 0
		.amdhsa_float_round_mode_16_64 0
		.amdhsa_float_denorm_mode_32 3
		.amdhsa_float_denorm_mode_16_64 3
		.amdhsa_dx10_clamp 1
		.amdhsa_ieee_mode 1
		.amdhsa_fp16_overflow 0
		.amdhsa_exception_fp_ieee_invalid_op 0
		.amdhsa_exception_fp_denorm_src 0
		.amdhsa_exception_fp_ieee_div_zero 0
		.amdhsa_exception_fp_ieee_overflow 0
		.amdhsa_exception_fp_ieee_underflow 0
		.amdhsa_exception_fp_ieee_inexact 0
		.amdhsa_exception_int_div_zero 0
	.end_amdhsa_kernel
	.section	.text._ZN2at6native12_GLOBAL__N_134avg_pool2d_backward_out_cuda_frameIffiEEvT1_PKT_llllliiiiiiPS4_ibb,"axG",@progbits,_ZN2at6native12_GLOBAL__N_134avg_pool2d_backward_out_cuda_frameIffiEEvT1_PKT_llllliiiiiiPS4_ibb,comdat
.Lfunc_end13:
	.size	_ZN2at6native12_GLOBAL__N_134avg_pool2d_backward_out_cuda_frameIffiEEvT1_PKT_llllliiiiiiPS4_ibb, .Lfunc_end13-_ZN2at6native12_GLOBAL__N_134avg_pool2d_backward_out_cuda_frameIffiEEvT1_PKT_llllliiiiiiPS4_ibb
                                        ; -- End function
	.set _ZN2at6native12_GLOBAL__N_134avg_pool2d_backward_out_cuda_frameIffiEEvT1_PKT_llllliiiiiiPS4_ibb.num_vgpr, 30
	.set _ZN2at6native12_GLOBAL__N_134avg_pool2d_backward_out_cuda_frameIffiEEvT1_PKT_llllliiiiiiPS4_ibb.num_agpr, 0
	.set _ZN2at6native12_GLOBAL__N_134avg_pool2d_backward_out_cuda_frameIffiEEvT1_PKT_llllliiiiiiPS4_ibb.numbered_sgpr, 58
	.set _ZN2at6native12_GLOBAL__N_134avg_pool2d_backward_out_cuda_frameIffiEEvT1_PKT_llllliiiiiiPS4_ibb.num_named_barrier, 0
	.set _ZN2at6native12_GLOBAL__N_134avg_pool2d_backward_out_cuda_frameIffiEEvT1_PKT_llllliiiiiiPS4_ibb.private_seg_size, 0
	.set _ZN2at6native12_GLOBAL__N_134avg_pool2d_backward_out_cuda_frameIffiEEvT1_PKT_llllliiiiiiPS4_ibb.uses_vcc, 1
	.set _ZN2at6native12_GLOBAL__N_134avg_pool2d_backward_out_cuda_frameIffiEEvT1_PKT_llllliiiiiiPS4_ibb.uses_flat_scratch, 0
	.set _ZN2at6native12_GLOBAL__N_134avg_pool2d_backward_out_cuda_frameIffiEEvT1_PKT_llllliiiiiiPS4_ibb.has_dyn_sized_stack, 0
	.set _ZN2at6native12_GLOBAL__N_134avg_pool2d_backward_out_cuda_frameIffiEEvT1_PKT_llllliiiiiiPS4_ibb.has_recursion, 0
	.set _ZN2at6native12_GLOBAL__N_134avg_pool2d_backward_out_cuda_frameIffiEEvT1_PKT_llllliiiiiiPS4_ibb.has_indirect_call, 0
	.section	.AMDGPU.csdata,"",@progbits
; Kernel info:
; codeLenInByte = 2712
; TotalNumSgprs: 62
; NumVgprs: 30
; ScratchSize: 0
; MemoryBound: 0
; FloatMode: 240
; IeeeMode: 1
; LDSByteSize: 0 bytes/workgroup (compile time only)
; SGPRBlocks: 7
; VGPRBlocks: 7
; NumSGPRsForWavesPerEU: 62
; NumVGPRsForWavesPerEU: 30
; Occupancy: 8
; WaveLimiterHint : 0
; COMPUTE_PGM_RSRC2:SCRATCH_EN: 0
; COMPUTE_PGM_RSRC2:USER_SGPR: 6
; COMPUTE_PGM_RSRC2:TRAP_HANDLER: 0
; COMPUTE_PGM_RSRC2:TGID_X_EN: 1
; COMPUTE_PGM_RSRC2:TGID_Y_EN: 0
; COMPUTE_PGM_RSRC2:TGID_Z_EN: 0
; COMPUTE_PGM_RSRC2:TIDIG_COMP_CNT: 0
	.section	.text._ZN2at6native12_GLOBAL__N_139avg_pool2d_backward_out_cuda_frame_nhwcIfflEEvT1_PKT_llliiiiiiiiPS4_ibb,"axG",@progbits,_ZN2at6native12_GLOBAL__N_139avg_pool2d_backward_out_cuda_frame_nhwcIfflEEvT1_PKT_llliiiiiiiiPS4_ibb,comdat
	.globl	_ZN2at6native12_GLOBAL__N_139avg_pool2d_backward_out_cuda_frame_nhwcIfflEEvT1_PKT_llliiiiiiiiPS4_ibb ; -- Begin function _ZN2at6native12_GLOBAL__N_139avg_pool2d_backward_out_cuda_frame_nhwcIfflEEvT1_PKT_llliiiiiiiiPS4_ibb
	.p2align	8
	.type	_ZN2at6native12_GLOBAL__N_139avg_pool2d_backward_out_cuda_frame_nhwcIfflEEvT1_PKT_llliiiiiiiiPS4_ibb,@function
_ZN2at6native12_GLOBAL__N_139avg_pool2d_backward_out_cuda_frame_nhwcIfflEEvT1_PKT_llliiiiiiiiPS4_ibb: ; @_ZN2at6native12_GLOBAL__N_139avg_pool2d_backward_out_cuda_frame_nhwcIfflEEvT1_PKT_llliiiiiiiiPS4_ibb
; %bb.0:
	s_load_dword s0, s[4:5], 0x64
	s_load_dwordx8 s[8:15], s[4:5], 0x0
	s_add_u32 s30, s4, 0x58
	v_mov_b32_e32 v2, 0
	s_addc_u32 s31, s5, 0
	s_waitcnt lgkmcnt(0)
	s_and_b32 s7, s0, 0xffff
	v_mov_b32_e32 v1, v2
	v_mov_b32_e32 v3, s6
	v_mad_u64_u32 v[0:1], s[0:1], s7, v3, v[0:1]
	v_cmp_gt_i64_e32 vcc, s[8:9], v[0:1]
	s_and_saveexec_b64 s[0:1], vcc
	s_cbranch_execz .LBB14_29
; %bb.1:
	s_load_dwordx4 s[24:27], s[4:5], 0x48
	s_load_dword s2, s[4:5], 0x54
	s_load_dwordx2 s[28:29], s[4:5], 0x20
	s_load_dwordx8 s[16:23], s[4:5], 0x28
	s_waitcnt lgkmcnt(0)
	s_bitcmp1_b32 s27, 0
	s_cselect_b64 s[0:1], -1, 0
	s_bitcmp1_b32 s2, 8
	s_cselect_b64 s[2:3], -1, 0
	s_ashr_i32 s5, s16, 31
	s_mul_hi_u32 s27, s12, s16
	s_mul_i32 s5, s12, s5
	s_load_dword s4, s[30:31], 0x0
	s_ashr_i32 s6, s17, 31
	s_add_i32 s5, s27, s5
	s_mul_i32 s27, s13, s16
	s_mul_i32 s30, s12, s16
	s_add_i32 s5, s5, s27
	s_mul_i32 s6, s30, s6
	s_mul_hi_u32 s27, s30, s17
	s_add_i32 s6, s27, s6
	s_abs_i32 s27, s20
	v_cvt_f32_u32_e32 v3, s27
	s_abs_i32 s33, s21
	v_cvt_f32_u32_e32 v4, s33
	s_mul_i32 s5, s5, s17
	v_rcp_iflag_f32_e32 v3, v3
	s_add_i32 s46, s6, s5
	v_rcp_iflag_f32_e32 v4, v4
	s_sub_i32 s5, 0, s27
	v_mul_f32_e32 v3, 0x4f7ffffe, v3
	v_cvt_u32_f32_e32 v3, v3
	v_mul_f32_e32 v4, 0x4f7ffffe, v4
	v_cvt_u32_f32_e32 v4, v4
	s_mul_i32 s47, s30, s17
	v_mul_lo_u32 v5, s5, v3
	s_sub_i32 s5, 0, s33
	v_mul_lo_u32 v6, s5, v4
	s_add_i32 s48, s22, s14
	v_mul_hi_u32 v5, v3, v5
	s_add_i32 s49, s23, s28
	v_mul_hi_u32 v6, v4, v6
	s_waitcnt lgkmcnt(0)
	s_mul_i32 s50, s4, s7
	s_ashr_i32 s51, s20, 31
	v_add_u32_e32 v10, v3, v5
	s_ashr_i32 s52, s21, 31
	v_add_u32_e32 v11, v4, v6
	s_sub_i32 s53, 0, s23
	s_sub_i32 s54, s19, s23
	s_mov_b64 s[30:31], 0
	s_ashr_i32 s34, s13, 31
	s_branch .LBB14_4
.LBB14_2:                               ;   in Loop: Header=BB14_4 Depth=1
	s_or_b64 exec, exec, s[38:39]
.LBB14_3:                               ;   in Loop: Header=BB14_4 Depth=1
	s_or_b64 exec, exec, s[36:37]
	v_lshlrev_b64 v[4:5], 2, v[0:1]
	v_add_co_u32_e32 v0, vcc, s50, v0
	v_addc_co_u32_e32 v1, vcc, 0, v1, vcc
	v_cmp_le_i64_e32 vcc, s[8:9], v[0:1]
	v_mov_b32_e32 v6, s25
	v_add_co_u32_e64 v4, s[4:5], s24, v4
	v_addc_co_u32_e64 v5, s[4:5], v6, v5, s[4:5]
	s_or_b64 s[30:31], vcc, s[30:31]
	global_store_dword v[4:5], v3, off
	s_andn2_b64 exec, exec, s[30:31]
	s_cbranch_execz .LBB14_29
.LBB14_4:                               ; =>This Loop Header: Depth=1
                                        ;     Child Loop BB14_24 Depth 2
                                        ;       Child Loop BB14_27 Depth 3
	v_or_b32_e32 v3, s13, v1
	v_cmp_ne_u64_e32 vcc, 0, v[2:3]
                                        ; implicit-def: $vgpr4_vgpr5
	s_and_saveexec_b64 s[4:5], vcc
	s_xor_b64 s[6:7], exec, s[4:5]
	s_cbranch_execz .LBB14_6
; %bb.5:                                ;   in Loop: Header=BB14_4 Depth=1
	s_add_u32 s4, s12, s34
	s_mov_b32 s35, s34
	s_addc_u32 s5, s13, s34
	s_xor_b64 s[36:37], s[4:5], s[34:35]
	v_cvt_f32_u32_e32 v3, s36
	v_cvt_f32_u32_e32 v4, s37
	s_sub_u32 s35, 0, s36
	s_subb_u32 s38, 0, s37
	v_ashrrev_i32_e32 v7, 31, v1
	v_mac_f32_e32 v3, 0x4f800000, v4
	v_rcp_f32_e32 v3, v3
	v_mul_f32_e32 v3, 0x5f7ffffc, v3
	v_mul_f32_e32 v4, 0x2f800000, v3
	v_trunc_f32_e32 v4, v4
	v_mac_f32_e32 v3, 0xcf800000, v4
	v_cvt_u32_f32_e32 v4, v4
	v_cvt_u32_f32_e32 v3, v3
	v_readfirstlane_b32 s39, v4
	v_readfirstlane_b32 s4, v3
	s_mul_i32 s5, s35, s39
	s_mul_hi_u32 s41, s35, s4
	s_mul_i32 s40, s38, s4
	s_add_i32 s5, s41, s5
	s_add_i32 s5, s5, s40
	s_mul_i32 s42, s35, s4
	s_mul_i32 s41, s4, s5
	s_mul_hi_u32 s43, s4, s42
	s_mul_hi_u32 s40, s4, s5
	s_add_u32 s41, s43, s41
	s_addc_u32 s40, 0, s40
	s_mul_hi_u32 s44, s39, s42
	s_mul_i32 s42, s39, s42
	s_add_u32 s41, s41, s42
	s_mul_hi_u32 s43, s39, s5
	s_addc_u32 s40, s40, s44
	s_addc_u32 s41, s43, 0
	s_mul_i32 s5, s39, s5
	s_add_u32 s5, s40, s5
	s_addc_u32 s40, 0, s41
	s_add_u32 s41, s4, s5
	s_cselect_b64 s[4:5], -1, 0
	s_cmp_lg_u64 s[4:5], 0
	s_addc_u32 s39, s39, s40
	s_mul_i32 s4, s35, s39
	s_mul_hi_u32 s5, s35, s41
	s_add_i32 s4, s5, s4
	s_mul_i32 s38, s38, s41
	s_add_i32 s4, s4, s38
	s_mul_i32 s35, s35, s41
	s_mul_hi_u32 s38, s39, s35
	s_mul_i32 s40, s39, s35
	s_mul_i32 s43, s41, s4
	s_mul_hi_u32 s35, s41, s35
	s_mul_hi_u32 s42, s41, s4
	s_add_u32 s35, s35, s43
	s_addc_u32 s42, 0, s42
	s_add_u32 s35, s35, s40
	s_mul_hi_u32 s5, s39, s4
	s_addc_u32 s35, s42, s38
	s_addc_u32 s5, s5, 0
	s_mul_i32 s4, s39, s4
	s_add_u32 s4, s35, s4
	s_addc_u32 s35, 0, s5
	s_add_u32 s38, s41, s4
	s_cselect_b64 s[4:5], -1, 0
	s_cmp_lg_u64 s[4:5], 0
	v_add_co_u32_e32 v3, vcc, v0, v7
	s_addc_u32 s35, s39, s35
	v_xor_b32_e32 v8, v3, v7
	v_mad_u64_u32 v[3:4], s[4:5], v8, s35, 0
	v_mul_hi_u32 v6, v8, s38
	v_addc_co_u32_e32 v5, vcc, v1, v7, vcc
	v_xor_b32_e32 v9, v5, v7
	v_add_co_u32_e32 v12, vcc, v6, v3
	v_addc_co_u32_e32 v13, vcc, 0, v4, vcc
	v_mad_u64_u32 v[3:4], s[4:5], v9, s38, 0
	v_mad_u64_u32 v[5:6], s[4:5], v9, s35, 0
	v_add_co_u32_e32 v3, vcc, v12, v3
	v_addc_co_u32_e32 v3, vcc, v13, v4, vcc
	v_addc_co_u32_e32 v4, vcc, 0, v6, vcc
	v_add_co_u32_e32 v5, vcc, v3, v5
	v_addc_co_u32_e32 v6, vcc, 0, v4, vcc
	v_mul_lo_u32 v12, s37, v5
	v_mul_lo_u32 v13, s36, v6
	v_mad_u64_u32 v[3:4], s[4:5], s36, v5, 0
	v_add3_u32 v4, v4, v13, v12
	v_sub_u32_e32 v12, v9, v4
	v_mov_b32_e32 v13, s37
	v_sub_co_u32_e32 v3, vcc, v8, v3
	v_subb_co_u32_e64 v8, s[4:5], v12, v13, vcc
	v_subrev_co_u32_e64 v12, s[4:5], s36, v3
	v_subbrev_co_u32_e64 v8, s[4:5], 0, v8, s[4:5]
	v_cmp_le_u32_e64 s[4:5], s37, v8
	v_cndmask_b32_e64 v13, 0, -1, s[4:5]
	v_cmp_le_u32_e64 s[4:5], s36, v12
	v_cndmask_b32_e64 v12, 0, -1, s[4:5]
	v_cmp_eq_u32_e64 s[4:5], s37, v8
	v_cndmask_b32_e64 v8, v13, v12, s[4:5]
	v_add_co_u32_e64 v12, s[4:5], 2, v5
	v_subb_co_u32_e32 v4, vcc, v9, v4, vcc
	v_addc_co_u32_e64 v13, s[4:5], 0, v6, s[4:5]
	v_cmp_le_u32_e32 vcc, s37, v4
	v_add_co_u32_e64 v14, s[4:5], 1, v5
	v_cndmask_b32_e64 v9, 0, -1, vcc
	v_cmp_le_u32_e32 vcc, s36, v3
	v_addc_co_u32_e64 v15, s[4:5], 0, v6, s[4:5]
	v_cndmask_b32_e64 v3, 0, -1, vcc
	v_cmp_eq_u32_e32 vcc, s37, v4
	v_cmp_ne_u32_e64 s[4:5], 0, v8
	v_cndmask_b32_e32 v3, v9, v3, vcc
	v_cmp_ne_u32_e32 vcc, 0, v3
	v_cndmask_b32_e64 v4, v14, v12, s[4:5]
	v_cndmask_b32_e64 v8, v15, v13, s[4:5]
	v_cndmask_b32_e32 v4, v5, v4, vcc
	v_xor_b32_e32 v5, s34, v7
	v_cndmask_b32_e32 v3, v6, v8, vcc
	v_xor_b32_e32 v4, v4, v5
	v_xor_b32_e32 v3, v3, v5
	v_sub_co_u32_e32 v4, vcc, v4, v5
	v_subb_co_u32_e32 v5, vcc, v3, v5, vcc
.LBB14_6:                               ;   in Loop: Header=BB14_4 Depth=1
	s_andn2_saveexec_b64 s[4:5], s[6:7]
	s_cbranch_execz .LBB14_8
; %bb.7:                                ;   in Loop: Header=BB14_4 Depth=1
	v_cvt_f32_u32_e32 v3, s12
	s_sub_i32 s6, 0, s12
	v_rcp_iflag_f32_e32 v3, v3
	v_mul_f32_e32 v3, 0x4f7ffffe, v3
	v_cvt_u32_f32_e32 v3, v3
	v_mul_lo_u32 v4, s6, v3
	v_mul_hi_u32 v4, v3, v4
	v_add_u32_e32 v3, v3, v4
	v_mul_hi_u32 v3, v0, v3
	v_mul_lo_u32 v4, v3, s12
	v_add_u32_e32 v5, 1, v3
	v_sub_u32_e32 v4, v0, v4
	v_subrev_u32_e32 v6, s12, v4
	v_cmp_le_u32_e32 vcc, s12, v4
	v_cndmask_b32_e32 v4, v4, v6, vcc
	v_cndmask_b32_e32 v3, v3, v5, vcc
	v_add_u32_e32 v5, 1, v3
	v_cmp_le_u32_e32 vcc, s12, v4
	v_cndmask_b32_e32 v4, v3, v5, vcc
	v_mov_b32_e32 v5, v2
.LBB14_8:                               ;   in Loop: Header=BB14_4 Depth=1
	s_or_b64 exec, exec, s[4:5]
	v_or_b32_e32 v3, s29, v5
	v_cmp_ne_u64_e32 vcc, 0, v[2:3]
                                        ; implicit-def: $vgpr6_vgpr7
	s_and_saveexec_b64 s[4:5], vcc
	s_xor_b64 s[6:7], exec, s[4:5]
	s_cbranch_execz .LBB14_10
; %bb.9:                                ;   in Loop: Header=BB14_4 Depth=1
	s_ashr_i32 s36, s29, 31
	s_add_u32 s4, s28, s36
	s_mov_b32 s37, s36
	s_addc_u32 s5, s29, s36
	s_xor_b64 s[38:39], s[4:5], s[36:37]
	v_cvt_f32_u32_e32 v3, s38
	v_cvt_f32_u32_e32 v6, s39
	s_sub_u32 s35, 0, s38
	s_subb_u32 s37, 0, s39
	v_mac_f32_e32 v3, 0x4f800000, v6
	v_rcp_f32_e32 v3, v3
	v_mul_f32_e32 v3, 0x5f7ffffc, v3
	v_mul_f32_e32 v6, 0x2f800000, v3
	v_trunc_f32_e32 v6, v6
	v_mac_f32_e32 v3, 0xcf800000, v6
	v_cvt_u32_f32_e32 v6, v6
	v_cvt_u32_f32_e32 v3, v3
	v_readfirstlane_b32 s40, v6
	v_readfirstlane_b32 s4, v3
	s_mul_i32 s5, s35, s40
	s_mul_hi_u32 s42, s35, s4
	s_mul_i32 s41, s37, s4
	s_add_i32 s5, s42, s5
	s_add_i32 s5, s5, s41
	s_mul_i32 s43, s35, s4
	s_mul_i32 s42, s4, s5
	s_mul_hi_u32 s44, s4, s43
	s_mul_hi_u32 s41, s4, s5
	s_add_u32 s42, s44, s42
	s_addc_u32 s41, 0, s41
	s_mul_hi_u32 s45, s40, s43
	s_mul_i32 s43, s40, s43
	s_add_u32 s42, s42, s43
	s_mul_hi_u32 s44, s40, s5
	s_addc_u32 s41, s41, s45
	s_addc_u32 s42, s44, 0
	s_mul_i32 s5, s40, s5
	s_add_u32 s5, s41, s5
	s_addc_u32 s41, 0, s42
	s_add_u32 s42, s4, s5
	s_cselect_b64 s[4:5], -1, 0
	s_cmp_lg_u64 s[4:5], 0
	s_addc_u32 s40, s40, s41
	s_mul_i32 s4, s35, s40
	s_mul_hi_u32 s5, s35, s42
	s_add_i32 s4, s5, s4
	s_mul_i32 s37, s37, s42
	s_add_i32 s4, s4, s37
	s_mul_i32 s35, s35, s42
	s_mul_hi_u32 s37, s40, s35
	s_mul_i32 s41, s40, s35
	s_mul_i32 s44, s42, s4
	s_mul_hi_u32 s35, s42, s35
	s_mul_hi_u32 s43, s42, s4
	s_add_u32 s35, s35, s44
	s_addc_u32 s43, 0, s43
	s_add_u32 s35, s35, s41
	s_mul_hi_u32 s5, s40, s4
	s_addc_u32 s35, s43, s37
	s_addc_u32 s5, s5, 0
	s_mul_i32 s4, s40, s4
	s_add_u32 s4, s35, s4
	s_addc_u32 s35, 0, s5
	s_add_u32 s37, s42, s4
	s_cselect_b64 s[4:5], -1, 0
	v_ashrrev_i32_e32 v3, 31, v5
	s_cmp_lg_u64 s[4:5], 0
	v_add_co_u32_e32 v6, vcc, v4, v3
	s_addc_u32 s35, s40, s35
	v_xor_b32_e32 v9, v6, v3
	v_addc_co_u32_e32 v7, vcc, v5, v3, vcc
	v_mad_u64_u32 v[5:6], s[4:5], v9, s35, 0
	v_mul_hi_u32 v8, v9, s37
	v_xor_b32_e32 v12, v7, v3
	v_xor_b32_e32 v3, s36, v3
	v_add_co_u32_e32 v13, vcc, v8, v5
	v_addc_co_u32_e32 v14, vcc, 0, v6, vcc
	v_mad_u64_u32 v[5:6], s[4:5], v12, s37, 0
	v_mad_u64_u32 v[7:8], s[4:5], v12, s35, 0
	v_add_co_u32_e32 v5, vcc, v13, v5
	v_addc_co_u32_e32 v5, vcc, v14, v6, vcc
	v_addc_co_u32_e32 v6, vcc, 0, v8, vcc
	v_add_co_u32_e32 v7, vcc, v5, v7
	v_addc_co_u32_e32 v8, vcc, 0, v6, vcc
	v_mul_lo_u32 v13, s39, v7
	v_mul_lo_u32 v14, s38, v8
	v_mad_u64_u32 v[5:6], s[4:5], s38, v7, 0
	v_add3_u32 v6, v6, v14, v13
	v_sub_u32_e32 v13, v12, v6
	v_mov_b32_e32 v14, s39
	v_sub_co_u32_e32 v5, vcc, v9, v5
	v_subb_co_u32_e64 v9, s[4:5], v13, v14, vcc
	v_subrev_co_u32_e64 v13, s[4:5], s38, v5
	v_subbrev_co_u32_e64 v9, s[4:5], 0, v9, s[4:5]
	v_cmp_le_u32_e64 s[4:5], s39, v9
	v_cndmask_b32_e64 v14, 0, -1, s[4:5]
	v_cmp_le_u32_e64 s[4:5], s38, v13
	v_cndmask_b32_e64 v13, 0, -1, s[4:5]
	v_cmp_eq_u32_e64 s[4:5], s39, v9
	v_cndmask_b32_e64 v9, v14, v13, s[4:5]
	v_add_co_u32_e64 v13, s[4:5], 2, v7
	v_subb_co_u32_e32 v6, vcc, v12, v6, vcc
	v_addc_co_u32_e64 v14, s[4:5], 0, v8, s[4:5]
	v_cmp_le_u32_e32 vcc, s39, v6
	v_add_co_u32_e64 v15, s[4:5], 1, v7
	v_cndmask_b32_e64 v12, 0, -1, vcc
	v_cmp_le_u32_e32 vcc, s38, v5
	v_addc_co_u32_e64 v16, s[4:5], 0, v8, s[4:5]
	v_cndmask_b32_e64 v5, 0, -1, vcc
	v_cmp_eq_u32_e32 vcc, s39, v6
	v_cmp_ne_u32_e64 s[4:5], 0, v9
	v_cndmask_b32_e32 v5, v12, v5, vcc
	v_cmp_ne_u32_e32 vcc, 0, v5
	v_cndmask_b32_e64 v6, v15, v13, s[4:5]
	v_cndmask_b32_e64 v9, v16, v14, s[4:5]
	v_cndmask_b32_e32 v6, v7, v6, vcc
	v_cndmask_b32_e32 v5, v8, v9, vcc
	v_xor_b32_e32 v6, v6, v3
	v_xor_b32_e32 v5, v5, v3
	v_sub_co_u32_e32 v6, vcc, v6, v3
	v_subb_co_u32_e32 v7, vcc, v5, v3, vcc
.LBB14_10:                              ;   in Loop: Header=BB14_4 Depth=1
	s_andn2_saveexec_b64 s[4:5], s[6:7]
	s_cbranch_execz .LBB14_12
; %bb.11:                               ;   in Loop: Header=BB14_4 Depth=1
	v_cvt_f32_u32_e32 v3, s28
	s_sub_i32 s6, 0, s28
	v_rcp_iflag_f32_e32 v3, v3
	v_mul_f32_e32 v3, 0x4f7ffffe, v3
	v_cvt_u32_f32_e32 v3, v3
	v_mul_lo_u32 v5, s6, v3
	v_mul_hi_u32 v5, v3, v5
	v_add_u32_e32 v3, v3, v5
	v_mul_hi_u32 v3, v4, v3
	v_mul_lo_u32 v5, v3, s28
	v_add_u32_e32 v6, 1, v3
	v_sub_u32_e32 v5, v4, v5
	v_subrev_u32_e32 v7, s28, v5
	v_cmp_le_u32_e32 vcc, s28, v5
	v_cndmask_b32_e32 v5, v5, v7, vcc
	v_cndmask_b32_e32 v3, v3, v6, vcc
	v_add_u32_e32 v6, 1, v3
	v_cmp_le_u32_e32 vcc, s28, v5
	v_cndmask_b32_e32 v6, v3, v6, vcc
	v_mov_b32_e32 v7, v2
.LBB14_12:                              ;   in Loop: Header=BB14_4 Depth=1
	s_or_b64 exec, exec, s[4:5]
	v_or_b32_e32 v3, s15, v7
	v_cmp_ne_u64_e32 vcc, 0, v[2:3]
                                        ; implicit-def: $vgpr8_vgpr9
	s_and_saveexec_b64 s[4:5], vcc
	s_xor_b64 s[6:7], exec, s[4:5]
	s_cbranch_execz .LBB14_14
; %bb.13:                               ;   in Loop: Header=BB14_4 Depth=1
	s_ashr_i32 s36, s15, 31
	s_add_u32 s4, s14, s36
	s_mov_b32 s37, s36
	s_addc_u32 s5, s15, s36
	s_xor_b64 s[38:39], s[4:5], s[36:37]
	v_cvt_f32_u32_e32 v3, s38
	v_cvt_f32_u32_e32 v5, s39
	s_sub_u32 s35, 0, s38
	s_subb_u32 s37, 0, s39
	v_mac_f32_e32 v3, 0x4f800000, v5
	v_rcp_f32_e32 v3, v3
	v_mul_f32_e32 v3, 0x5f7ffffc, v3
	v_mul_f32_e32 v5, 0x2f800000, v3
	v_trunc_f32_e32 v5, v5
	v_mac_f32_e32 v3, 0xcf800000, v5
	v_cvt_u32_f32_e32 v5, v5
	v_cvt_u32_f32_e32 v3, v3
	v_readfirstlane_b32 s40, v5
	v_readfirstlane_b32 s4, v3
	s_mul_i32 s5, s35, s40
	s_mul_hi_u32 s42, s35, s4
	s_mul_i32 s41, s37, s4
	s_add_i32 s5, s42, s5
	s_add_i32 s5, s5, s41
	s_mul_i32 s43, s35, s4
	s_mul_i32 s42, s4, s5
	s_mul_hi_u32 s44, s4, s43
	s_mul_hi_u32 s41, s4, s5
	s_add_u32 s42, s44, s42
	s_addc_u32 s41, 0, s41
	s_mul_hi_u32 s45, s40, s43
	s_mul_i32 s43, s40, s43
	s_add_u32 s42, s42, s43
	s_mul_hi_u32 s44, s40, s5
	s_addc_u32 s41, s41, s45
	s_addc_u32 s42, s44, 0
	s_mul_i32 s5, s40, s5
	s_add_u32 s5, s41, s5
	s_addc_u32 s41, 0, s42
	s_add_u32 s42, s4, s5
	s_cselect_b64 s[4:5], -1, 0
	s_cmp_lg_u64 s[4:5], 0
	s_addc_u32 s40, s40, s41
	s_mul_i32 s4, s35, s40
	s_mul_hi_u32 s5, s35, s42
	s_add_i32 s4, s5, s4
	s_mul_i32 s37, s37, s42
	s_add_i32 s4, s4, s37
	s_mul_i32 s35, s35, s42
	s_mul_hi_u32 s37, s40, s35
	s_mul_i32 s41, s40, s35
	s_mul_i32 s44, s42, s4
	s_mul_hi_u32 s35, s42, s35
	s_mul_hi_u32 s43, s42, s4
	s_add_u32 s35, s35, s44
	s_addc_u32 s43, 0, s43
	s_add_u32 s35, s35, s41
	s_mul_hi_u32 s5, s40, s4
	s_addc_u32 s35, s43, s37
	s_addc_u32 s5, s5, 0
	s_mul_i32 s4, s40, s4
	s_add_u32 s4, s35, s4
	s_addc_u32 s35, 0, s5
	s_add_u32 s37, s42, s4
	s_cselect_b64 s[4:5], -1, 0
	v_ashrrev_i32_e32 v3, 31, v7
	s_cmp_lg_u64 s[4:5], 0
	v_add_co_u32_e32 v5, vcc, v6, v3
	s_addc_u32 s35, s40, s35
	v_xor_b32_e32 v5, v5, v3
	v_addc_co_u32_e32 v9, vcc, v7, v3, vcc
	v_mad_u64_u32 v[7:8], s[4:5], v5, s35, 0
	v_mul_hi_u32 v12, v5, s37
	v_xor_b32_e32 v9, v9, v3
	v_xor_b32_e32 v3, s36, v3
	v_add_co_u32_e32 v14, vcc, v12, v7
	v_addc_co_u32_e32 v15, vcc, 0, v8, vcc
	v_mad_u64_u32 v[7:8], s[4:5], v9, s37, 0
	v_mad_u64_u32 v[12:13], s[4:5], v9, s35, 0
	v_add_co_u32_e32 v7, vcc, v14, v7
	v_addc_co_u32_e32 v7, vcc, v15, v8, vcc
	v_addc_co_u32_e32 v8, vcc, 0, v13, vcc
	v_add_co_u32_e32 v12, vcc, v7, v12
	v_addc_co_u32_e32 v7, vcc, 0, v8, vcc
	v_mul_lo_u32 v13, s39, v12
	v_mul_lo_u32 v14, s38, v7
	v_mad_u64_u32 v[7:8], s[4:5], s38, v12, 0
	v_add3_u32 v8, v8, v14, v13
	v_sub_u32_e32 v13, v9, v8
	v_mov_b32_e32 v14, s39
	v_sub_co_u32_e32 v5, vcc, v5, v7
	v_subb_co_u32_e64 v7, s[4:5], v13, v14, vcc
	v_subrev_co_u32_e64 v13, s[4:5], s38, v5
	v_subbrev_co_u32_e64 v7, s[4:5], 0, v7, s[4:5]
	v_cmp_le_u32_e64 s[4:5], s39, v7
	v_subb_co_u32_e32 v8, vcc, v9, v8, vcc
	v_cndmask_b32_e64 v14, 0, -1, s[4:5]
	v_cmp_le_u32_e64 s[4:5], s38, v13
	v_cmp_le_u32_e32 vcc, s39, v8
	v_cndmask_b32_e64 v13, 0, -1, s[4:5]
	v_cmp_eq_u32_e64 s[4:5], s39, v7
	v_cndmask_b32_e64 v9, 0, -1, vcc
	v_cmp_le_u32_e32 vcc, s38, v5
	v_cndmask_b32_e64 v7, v14, v13, s[4:5]
	v_cndmask_b32_e64 v5, 0, -1, vcc
	v_cmp_eq_u32_e32 vcc, s39, v8
	v_add_co_u32_e64 v13, s[4:5], 2, v12
	v_add_co_u32_e64 v14, s[4:5], 1, v12
	v_cndmask_b32_e32 v5, v9, v5, vcc
	v_cmp_ne_u32_e32 vcc, 0, v7
	v_cndmask_b32_e32 v7, v14, v13, vcc
	v_cmp_ne_u32_e32 vcc, 0, v5
	v_cndmask_b32_e32 v5, v12, v7, vcc
	v_xor_b32_e32 v5, v5, v3
	v_sub_co_u32_e32 v8, vcc, v5, v3
.LBB14_14:                              ;   in Loop: Header=BB14_4 Depth=1
	s_andn2_saveexec_b64 s[4:5], s[6:7]
	s_cbranch_execz .LBB14_16
; %bb.15:                               ;   in Loop: Header=BB14_4 Depth=1
	v_cvt_f32_u32_e32 v3, s14
	s_sub_i32 s6, 0, s14
	v_rcp_iflag_f32_e32 v3, v3
	v_mul_f32_e32 v3, 0x4f7ffffe, v3
	v_cvt_u32_f32_e32 v3, v3
	v_mul_lo_u32 v5, s6, v3
	v_mul_hi_u32 v5, v3, v5
	v_add_u32_e32 v3, v3, v5
	v_mul_hi_u32 v3, v6, v3
	v_mul_lo_u32 v5, v3, s14
	v_add_u32_e32 v7, 1, v3
	v_sub_u32_e32 v5, v6, v5
	v_subrev_u32_e32 v8, s14, v5
	v_cmp_le_u32_e32 vcc, s14, v5
	v_cndmask_b32_e32 v5, v5, v8, vcc
	v_cndmask_b32_e32 v3, v3, v7, vcc
	v_add_u32_e32 v7, 1, v3
	v_cmp_le_u32_e32 vcc, s14, v5
	v_cndmask_b32_e32 v8, v3, v7, vcc
.LBB14_16:                              ;   in Loop: Header=BB14_4 Depth=1
	s_or_b64 exec, exec, s[4:5]
	v_mul_lo_u32 v3, v8, s14
	v_mov_b32_e32 v5, 0
	v_mov_b32_e32 v7, 0
	v_sub_u32_e32 v3, v6, v3
	v_cmp_le_i32_e32 vcc, s18, v3
	s_and_saveexec_b64 s[4:5], vcc
	s_cbranch_execz .LBB14_18
; %bb.17:                               ;   in Loop: Header=BB14_4 Depth=1
	v_subrev_u32_e32 v7, s18, v3
	v_mul_hi_u32 v9, v7, v10
	v_mul_lo_u32 v12, v9, s27
	v_add_u32_e32 v13, 1, v9
	v_sub_u32_e32 v7, v7, v12
	v_cmp_le_u32_e32 vcc, s27, v7
	v_subrev_u32_e32 v12, s27, v7
	v_cndmask_b32_e32 v9, v9, v13, vcc
	v_cndmask_b32_e32 v7, v7, v12, vcc
	v_add_u32_e32 v12, 1, v9
	v_cmp_le_u32_e32 vcc, s27, v7
	v_cndmask_b32_e32 v7, v9, v12, vcc
	v_xor_b32_e32 v7, s51, v7
	v_subrev_u32_e32 v7, s51, v7
	v_add_u32_e32 v7, 1, v7
.LBB14_18:                              ;   in Loop: Header=BB14_4 Depth=1
	s_or_b64 exec, exec, s[4:5]
	v_mul_lo_u32 v6, v6, s28
	v_sub_u32_e32 v9, v4, v6
	v_cmp_le_i32_e32 vcc, s19, v9
	s_and_saveexec_b64 s[4:5], vcc
	s_cbranch_execz .LBB14_20
; %bb.19:                               ;   in Loop: Header=BB14_4 Depth=1
	v_subrev_u32_e32 v5, s19, v9
	v_mul_hi_u32 v6, v5, v11
	v_mul_lo_u32 v12, v6, s33
	v_add_u32_e32 v13, 1, v6
	v_sub_u32_e32 v5, v5, v12
	v_cmp_le_u32_e32 vcc, s33, v5
	v_subrev_u32_e32 v12, s33, v5
	v_cndmask_b32_e32 v6, v6, v13, vcc
	v_cndmask_b32_e32 v5, v5, v12, vcc
	v_add_u32_e32 v12, 1, v6
	v_cmp_le_u32_e32 vcc, s33, v5
	v_cndmask_b32_e32 v5, v6, v12, vcc
	v_xor_b32_e32 v5, s52, v5
	v_subrev_u32_e32 v5, s52, v5
	v_add_u32_e32 v5, 1, v5
.LBB14_20:                              ;   in Loop: Header=BB14_4 Depth=1
	s_or_b64 exec, exec, s[4:5]
	v_sub_u32_e32 v6, 0, v3
	v_max_i32_e32 v6, v3, v6
	v_mul_hi_u32 v12, v6, v10
	v_ashrrev_i32_e32 v3, 31, v3
	v_xor_b32_e32 v3, s51, v3
	v_mul_lo_u32 v13, v12, s27
	v_add_u32_e32 v14, 1, v12
	v_sub_u32_e32 v6, v6, v13
	v_cmp_le_u32_e32 vcc, s27, v6
	v_subrev_u32_e32 v13, s27, v6
	v_cndmask_b32_e32 v12, v12, v14, vcc
	v_cndmask_b32_e32 v6, v6, v13, vcc
	v_add_u32_e32 v13, 1, v12
	v_cmp_le_u32_e32 vcc, s27, v6
	v_cndmask_b32_e32 v6, v12, v13, vcc
	v_xor_b32_e32 v6, v6, v3
	v_sub_u32_e32 v3, v6, v3
	v_add_u32_e32 v3, 1, v3
	v_min_i32_e32 v6, s16, v3
	v_cmp_lt_i32_e32 vcc, v7, v6
	v_mov_b32_e32 v3, 0
	s_and_saveexec_b64 s[36:37], vcc
	s_cbranch_execz .LBB14_3
; %bb.21:                               ;   in Loop: Header=BB14_4 Depth=1
	v_sub_u32_e32 v3, 0, v9
	v_max_i32_e32 v12, v9, v3
	v_mul_hi_u32 v13, v12, v11
	v_mul_lo_u32 v3, v4, s12
	v_ashrrev_i32_e32 v4, 31, v9
	v_xor_b32_e32 v4, s52, v4
	v_mul_lo_u32 v9, v13, s33
	v_add_u32_e32 v14, 1, v13
	v_sub_u32_e32 v3, v0, v3
	s_mov_b64 s[38:39], 0
	v_sub_u32_e32 v9, v12, v9
	v_cmp_le_u32_e32 vcc, s33, v9
	v_cndmask_b32_e32 v12, v13, v14, vcc
	v_subrev_u32_e32 v13, s33, v9
	v_cndmask_b32_e32 v9, v9, v13, vcc
	v_add_u32_e32 v13, 1, v12
	v_cmp_le_u32_e32 vcc, s33, v9
	v_cndmask_b32_e32 v9, v12, v13, vcc
	v_xor_b32_e32 v12, v9, v4
	v_ashrrev_i32_e32 v9, 31, v8
	v_mul_lo_u32 v13, s46, v8
	v_mul_lo_u32 v14, s47, v9
	v_mad_u64_u32 v[8:9], s[4:5], s47, v8, 0
	v_sub_u32_e32 v4, v12, v4
	v_mov_b32_e32 v12, s11
	v_add3_u32 v9, v9, v14, v13
	v_lshlrev_b64 v[8:9], 2, v[8:9]
	v_add_u32_e32 v4, 1, v4
	v_add_co_u32_e32 v13, vcc, s10, v8
	v_addc_co_u32_e32 v12, vcc, v12, v9, vcc
	v_ashrrev_i64 v[8:9], 30, v[2:3]
	v_mul_lo_u32 v3, s21, v5
	v_add_co_u32_e32 v8, vcc, v13, v8
	v_addc_co_u32_e32 v9, vcc, v12, v9, vcc
	v_mul_lo_u32 v12, s17, v7
	v_min_i32_e32 v4, s17, v4
	v_cmp_lt_i32_e64 s[4:5], v5, v4
	v_add_u32_e32 v13, s53, v3
	v_add_u32_e32 v14, s54, v3
	v_sub_u32_e32 v15, s23, v3
	v_mov_b32_e32 v3, 0
	s_branch .LBB14_24
.LBB14_22:                              ;   in Loop: Header=BB14_24 Depth=2
	s_or_b64 exec, exec, s[42:43]
.LBB14_23:                              ;   in Loop: Header=BB14_24 Depth=2
	s_or_b64 exec, exec, s[40:41]
	v_add_u32_e32 v7, 1, v7
	v_cmp_ge_i32_e32 vcc, v7, v6
	s_or_b64 s[38:39], vcc, s[38:39]
	v_add_u32_e32 v12, s17, v12
	s_andn2_b64 exec, exec, s[38:39]
	s_cbranch_execz .LBB14_2
.LBB14_24:                              ;   Parent Loop BB14_4 Depth=1
                                        ; =>  This Loop Header: Depth=2
                                        ;       Child Loop BB14_27 Depth 3
	s_and_saveexec_b64 s[40:41], s[4:5]
	s_cbranch_execz .LBB14_23
; %bb.25:                               ;   in Loop: Header=BB14_24 Depth=2
	v_mul_lo_u32 v16, v7, s20
	s_mov_b64 s[42:43], 0
	v_mov_b32_e32 v20, v13
	v_mov_b32_e32 v21, v5
	v_subrev_u32_e32 v16, s22, v16
	v_add_u32_e32 v17, s18, v16
	v_min_i32_e32 v17, s48, v17
	v_max_i32_e32 v18, 0, v16
	v_min_i32_e32 v19, s14, v17
	v_sub_u32_e32 v16, v17, v16
	v_cmp_gt_i32_e64 s[6:7], v19, v18
	v_sub_u32_e32 v17, v19, v18
	v_mov_b32_e32 v18, v15
	v_mov_b32_e32 v19, v14
	s_branch .LBB14_27
.LBB14_26:                              ;   in Loop: Header=BB14_27 Depth=3
	s_or_b64 exec, exec, s[44:45]
	v_add_u32_e32 v21, 1, v21
	v_cmp_ge_i32_e32 vcc, v21, v4
	v_add_u32_e32 v20, s21, v20
	v_add_u32_e32 v19, s21, v19
	s_or_b64 s[42:43], vcc, s[42:43]
	v_subrev_u32_e32 v18, s21, v18
	s_andn2_b64 exec, exec, s[42:43]
	s_cbranch_execz .LBB14_22
.LBB14_27:                              ;   Parent Loop BB14_4 Depth=1
                                        ;     Parent Loop BB14_24 Depth=2
                                        ; =>    This Inner Loop Header: Depth=3
	v_add_u32_e32 v23, s19, v20
	v_mov_b32_e32 v24, s28
	v_max_i32_e32 v22, 0, v20
	v_min3_i32 v23, v23, s49, v24
	v_cmp_gt_i32_e32 vcc, v23, v22
	s_and_b64 s[56:57], s[6:7], vcc
	s_and_saveexec_b64 s[44:45], s[56:57]
	s_cbranch_execz .LBB14_26
; %bb.28:                               ;   in Loop: Header=BB14_27 Depth=3
	v_add_u32_e32 v24, v12, v21
	v_ashrrev_i32_e32 v26, 31, v24
	v_mul_lo_u32 v27, s13, v24
	v_mad_u64_u32 v[24:25], s[56:57], s12, v24, 0
	v_mul_lo_u32 v26, s12, v26
	v_sub_u32_e32 v22, v23, v22
	v_mul_lo_u32 v22, v22, v17
	v_add3_u32 v25, v25, v26, v27
	v_lshlrev_b64 v[24:25], 2, v[24:25]
	v_add_co_u32_e32 v24, vcc, v8, v24
	v_addc_co_u32_e32 v25, vcc, v9, v25, vcc
	global_load_dword v24, v[24:25], off
	v_min_i32_e32 v25, s49, v19
	v_add_u32_e32 v23, v25, v18
	v_mul_lo_u32 v23, v23, v16
	v_mov_b32_e32 v25, s26
	v_cndmask_b32_e64 v22, v22, v23, s[0:1]
	v_cndmask_b32_e64 v22, v22, v25, s[2:3]
	v_cvt_f32_i32_e32 v22, v22
	s_waitcnt vmcnt(0)
	v_div_scale_f32 v23, s[56:57], v22, v22, v24
	v_div_scale_f32 v25, vcc, v24, v22, v24
	v_rcp_f32_e32 v26, v23
	v_fma_f32 v27, -v23, v26, 1.0
	v_fmac_f32_e32 v26, v27, v26
	v_mul_f32_e32 v27, v25, v26
	v_fma_f32 v28, -v23, v27, v25
	v_fmac_f32_e32 v27, v28, v26
	v_fma_f32 v23, -v23, v27, v25
	v_div_fmas_f32 v23, v23, v26, v27
	v_div_fixup_f32 v22, v23, v22, v24
	v_add_f32_e32 v3, v3, v22
	s_branch .LBB14_26
.LBB14_29:
	s_endpgm
	.section	.rodata,"a",@progbits
	.p2align	6, 0x0
	.amdhsa_kernel _ZN2at6native12_GLOBAL__N_139avg_pool2d_backward_out_cuda_frame_nhwcIfflEEvT1_PKT_llliiiiiiiiPS4_ibb
		.amdhsa_group_segment_fixed_size 0
		.amdhsa_private_segment_fixed_size 0
		.amdhsa_kernarg_size 344
		.amdhsa_user_sgpr_count 6
		.amdhsa_user_sgpr_private_segment_buffer 1
		.amdhsa_user_sgpr_dispatch_ptr 0
		.amdhsa_user_sgpr_queue_ptr 0
		.amdhsa_user_sgpr_kernarg_segment_ptr 1
		.amdhsa_user_sgpr_dispatch_id 0
		.amdhsa_user_sgpr_flat_scratch_init 0
		.amdhsa_user_sgpr_private_segment_size 0
		.amdhsa_uses_dynamic_stack 0
		.amdhsa_system_sgpr_private_segment_wavefront_offset 0
		.amdhsa_system_sgpr_workgroup_id_x 1
		.amdhsa_system_sgpr_workgroup_id_y 0
		.amdhsa_system_sgpr_workgroup_id_z 0
		.amdhsa_system_sgpr_workgroup_info 0
		.amdhsa_system_vgpr_workitem_id 0
		.amdhsa_next_free_vgpr 29
		.amdhsa_next_free_sgpr 58
		.amdhsa_reserve_vcc 1
		.amdhsa_reserve_flat_scratch 0
		.amdhsa_float_round_mode_32 0
		.amdhsa_float_round_mode_16_64 0
		.amdhsa_float_denorm_mode_32 3
		.amdhsa_float_denorm_mode_16_64 3
		.amdhsa_dx10_clamp 1
		.amdhsa_ieee_mode 1
		.amdhsa_fp16_overflow 0
		.amdhsa_exception_fp_ieee_invalid_op 0
		.amdhsa_exception_fp_denorm_src 0
		.amdhsa_exception_fp_ieee_div_zero 0
		.amdhsa_exception_fp_ieee_overflow 0
		.amdhsa_exception_fp_ieee_underflow 0
		.amdhsa_exception_fp_ieee_inexact 0
		.amdhsa_exception_int_div_zero 0
	.end_amdhsa_kernel
	.section	.text._ZN2at6native12_GLOBAL__N_139avg_pool2d_backward_out_cuda_frame_nhwcIfflEEvT1_PKT_llliiiiiiiiPS4_ibb,"axG",@progbits,_ZN2at6native12_GLOBAL__N_139avg_pool2d_backward_out_cuda_frame_nhwcIfflEEvT1_PKT_llliiiiiiiiPS4_ibb,comdat
.Lfunc_end14:
	.size	_ZN2at6native12_GLOBAL__N_139avg_pool2d_backward_out_cuda_frame_nhwcIfflEEvT1_PKT_llliiiiiiiiPS4_ibb, .Lfunc_end14-_ZN2at6native12_GLOBAL__N_139avg_pool2d_backward_out_cuda_frame_nhwcIfflEEvT1_PKT_llliiiiiiiiPS4_ibb
                                        ; -- End function
	.set _ZN2at6native12_GLOBAL__N_139avg_pool2d_backward_out_cuda_frame_nhwcIfflEEvT1_PKT_llliiiiiiiiPS4_ibb.num_vgpr, 29
	.set _ZN2at6native12_GLOBAL__N_139avg_pool2d_backward_out_cuda_frame_nhwcIfflEEvT1_PKT_llliiiiiiiiPS4_ibb.num_agpr, 0
	.set _ZN2at6native12_GLOBAL__N_139avg_pool2d_backward_out_cuda_frame_nhwcIfflEEvT1_PKT_llliiiiiiiiPS4_ibb.numbered_sgpr, 58
	.set _ZN2at6native12_GLOBAL__N_139avg_pool2d_backward_out_cuda_frame_nhwcIfflEEvT1_PKT_llliiiiiiiiPS4_ibb.num_named_barrier, 0
	.set _ZN2at6native12_GLOBAL__N_139avg_pool2d_backward_out_cuda_frame_nhwcIfflEEvT1_PKT_llliiiiiiiiPS4_ibb.private_seg_size, 0
	.set _ZN2at6native12_GLOBAL__N_139avg_pool2d_backward_out_cuda_frame_nhwcIfflEEvT1_PKT_llliiiiiiiiPS4_ibb.uses_vcc, 1
	.set _ZN2at6native12_GLOBAL__N_139avg_pool2d_backward_out_cuda_frame_nhwcIfflEEvT1_PKT_llliiiiiiiiPS4_ibb.uses_flat_scratch, 0
	.set _ZN2at6native12_GLOBAL__N_139avg_pool2d_backward_out_cuda_frame_nhwcIfflEEvT1_PKT_llliiiiiiiiPS4_ibb.has_dyn_sized_stack, 0
	.set _ZN2at6native12_GLOBAL__N_139avg_pool2d_backward_out_cuda_frame_nhwcIfflEEvT1_PKT_llliiiiiiiiPS4_ibb.has_recursion, 0
	.set _ZN2at6native12_GLOBAL__N_139avg_pool2d_backward_out_cuda_frame_nhwcIfflEEvT1_PKT_llliiiiiiiiPS4_ibb.has_indirect_call, 0
	.section	.AMDGPU.csdata,"",@progbits
; Kernel info:
; codeLenInByte = 3452
; TotalNumSgprs: 62
; NumVgprs: 29
; ScratchSize: 0
; MemoryBound: 0
; FloatMode: 240
; IeeeMode: 1
; LDSByteSize: 0 bytes/workgroup (compile time only)
; SGPRBlocks: 7
; VGPRBlocks: 7
; NumSGPRsForWavesPerEU: 62
; NumVGPRsForWavesPerEU: 29
; Occupancy: 8
; WaveLimiterHint : 0
; COMPUTE_PGM_RSRC2:SCRATCH_EN: 0
; COMPUTE_PGM_RSRC2:USER_SGPR: 6
; COMPUTE_PGM_RSRC2:TRAP_HANDLER: 0
; COMPUTE_PGM_RSRC2:TGID_X_EN: 1
; COMPUTE_PGM_RSRC2:TGID_Y_EN: 0
; COMPUTE_PGM_RSRC2:TGID_Z_EN: 0
; COMPUTE_PGM_RSRC2:TIDIG_COMP_CNT: 0
	.section	.text._ZN2at6native12_GLOBAL__N_134avg_pool2d_backward_out_cuda_frameIfflEEvT1_PKT_llllliiiiiiPS4_ibb,"axG",@progbits,_ZN2at6native12_GLOBAL__N_134avg_pool2d_backward_out_cuda_frameIfflEEvT1_PKT_llllliiiiiiPS4_ibb,comdat
	.globl	_ZN2at6native12_GLOBAL__N_134avg_pool2d_backward_out_cuda_frameIfflEEvT1_PKT_llllliiiiiiPS4_ibb ; -- Begin function _ZN2at6native12_GLOBAL__N_134avg_pool2d_backward_out_cuda_frameIfflEEvT1_PKT_llllliiiiiiPS4_ibb
	.p2align	8
	.type	_ZN2at6native12_GLOBAL__N_134avg_pool2d_backward_out_cuda_frameIfflEEvT1_PKT_llllliiiiiiPS4_ibb,@function
_ZN2at6native12_GLOBAL__N_134avg_pool2d_backward_out_cuda_frameIfflEEvT1_PKT_llllliiiiiiPS4_ibb: ; @_ZN2at6native12_GLOBAL__N_134avg_pool2d_backward_out_cuda_frameIfflEEvT1_PKT_llllliiiiiiPS4_ibb
; %bb.0:
	s_load_dword s2, s[4:5], 0x6c
	s_load_dwordx8 s[8:15], s[4:5], 0x0
	s_add_u32 s0, s4, 0x60
	v_mov_b32_e32 v2, 0
	s_addc_u32 s1, s5, 0
	s_waitcnt lgkmcnt(0)
	s_and_b32 s7, s2, 0xffff
	v_mov_b32_e32 v1, v2
	v_mov_b32_e32 v3, s6
	v_mad_u64_u32 v[0:1], s[2:3], s7, v3, v[0:1]
	v_cmp_gt_i64_e32 vcc, s[8:9], v[0:1]
	s_and_saveexec_b64 s[2:3], vcc
	s_cbranch_execz .LBB15_29
; %bb.1:
	s_load_dwordx2 s[34:35], s[4:5], 0x58
	s_load_dword s2, s[4:5], 0x5c
	s_load_dwordx8 s[16:23], s[4:5], 0x38
	s_load_dword s6, s[0:1], 0x0
	s_load_dwordx8 s[24:31], s[4:5], 0x20
	s_waitcnt lgkmcnt(0)
	s_bitcmp1_b32 s35, 0
	s_cselect_b64 s[0:1], -1, 0
	s_bitcmp1_b32 s2, 8
	s_cselect_b64 s[2:3], -1, 0
	s_abs_i32 s33, s18
	v_cvt_f32_u32_e32 v3, s33
	s_abs_i32 s35, s19
	v_cvt_f32_u32_e32 v4, s35
	s_sub_i32 s4, 0, s33
	v_rcp_iflag_f32_e32 v3, v3
	s_mul_i32 s52, s6, s7
	v_rcp_iflag_f32_e32 v4, v4
	s_add_i32 s53, s20, s14
	v_mul_f32_e32 v3, 0x4f7ffffe, v3
	v_cvt_u32_f32_e32 v3, v3
	v_mul_f32_e32 v4, 0x4f7ffffe, v4
	v_cvt_u32_f32_e32 v4, v4
	s_add_i32 s54, s21, s24
	v_mul_lo_u32 v5, s4, v3
	s_sub_i32 s4, 0, s35
	v_mul_lo_u32 v6, s4, v4
	s_ashr_i32 s55, s18, 31
	v_mul_hi_u32 v5, v3, v5
	s_ashr_i32 s56, s19, 31
	v_mul_hi_u32 v6, v4, v6
	s_lshl_b64 s[30:31], s[26:27], 2
	v_add_u32_e32 v10, v3, v5
	s_lshl_b64 s[36:37], s[28:29], 2
	v_add_u32_e32 v11, v4, v6
	s_sub_i32 s27, 0, s21
	s_sub_i32 s57, s17, s21
	s_mov_b64 s[38:39], 0
	s_ashr_i32 s40, s25, 31
	s_branch .LBB15_4
.LBB15_2:                               ;   in Loop: Header=BB15_4 Depth=1
	s_or_b64 exec, exec, s[44:45]
.LBB15_3:                               ;   in Loop: Header=BB15_4 Depth=1
	s_or_b64 exec, exec, s[42:43]
	v_lshlrev_b64 v[5:6], 2, v[0:1]
	v_add_co_u32_e32 v0, vcc, s52, v0
	v_addc_co_u32_e32 v1, vcc, 0, v1, vcc
	v_cmp_le_i64_e32 vcc, s[8:9], v[0:1]
	v_mov_b32_e32 v3, s23
	v_add_co_u32_e64 v5, s[4:5], s22, v5
	v_addc_co_u32_e64 v6, s[4:5], v3, v6, s[4:5]
	s_or_b64 s[38:39], vcc, s[38:39]
	global_store_dword v[5:6], v4, off
	s_andn2_b64 exec, exec, s[38:39]
	s_cbranch_execz .LBB15_29
.LBB15_4:                               ; =>This Loop Header: Depth=1
                                        ;     Child Loop BB15_24 Depth 2
                                        ;       Child Loop BB15_27 Depth 3
	v_or_b32_e32 v3, s25, v1
	v_cmp_ne_u64_e32 vcc, 0, v[2:3]
                                        ; implicit-def: $vgpr4_vgpr5
	s_and_saveexec_b64 s[4:5], vcc
	s_xor_b64 s[6:7], exec, s[4:5]
	s_cbranch_execz .LBB15_6
; %bb.5:                                ;   in Loop: Header=BB15_4 Depth=1
	s_add_u32 s4, s24, s40
	s_mov_b32 s41, s40
	s_addc_u32 s5, s25, s40
	s_xor_b64 s[42:43], s[4:5], s[40:41]
	v_cvt_f32_u32_e32 v3, s42
	v_cvt_f32_u32_e32 v4, s43
	s_sub_u32 s41, 0, s42
	s_subb_u32 s44, 0, s43
	v_ashrrev_i32_e32 v7, 31, v1
	v_mac_f32_e32 v3, 0x4f800000, v4
	v_rcp_f32_e32 v3, v3
	v_mul_f32_e32 v3, 0x5f7ffffc, v3
	v_mul_f32_e32 v4, 0x2f800000, v3
	v_trunc_f32_e32 v4, v4
	v_mac_f32_e32 v3, 0xcf800000, v4
	v_cvt_u32_f32_e32 v4, v4
	v_cvt_u32_f32_e32 v3, v3
	v_readfirstlane_b32 s45, v4
	v_readfirstlane_b32 s4, v3
	s_mul_i32 s5, s41, s45
	s_mul_hi_u32 s47, s41, s4
	s_mul_i32 s46, s44, s4
	s_add_i32 s5, s47, s5
	s_add_i32 s5, s5, s46
	s_mul_i32 s48, s41, s4
	s_mul_i32 s47, s4, s5
	s_mul_hi_u32 s49, s4, s48
	s_mul_hi_u32 s46, s4, s5
	s_add_u32 s47, s49, s47
	s_addc_u32 s46, 0, s46
	s_mul_hi_u32 s50, s45, s48
	s_mul_i32 s48, s45, s48
	s_add_u32 s47, s47, s48
	s_mul_hi_u32 s49, s45, s5
	s_addc_u32 s46, s46, s50
	s_addc_u32 s47, s49, 0
	s_mul_i32 s5, s45, s5
	s_add_u32 s5, s46, s5
	s_addc_u32 s46, 0, s47
	s_add_u32 s47, s4, s5
	s_cselect_b64 s[4:5], -1, 0
	s_cmp_lg_u64 s[4:5], 0
	s_addc_u32 s45, s45, s46
	s_mul_i32 s4, s41, s45
	s_mul_hi_u32 s5, s41, s47
	s_add_i32 s4, s5, s4
	s_mul_i32 s44, s44, s47
	s_add_i32 s4, s4, s44
	s_mul_i32 s41, s41, s47
	s_mul_hi_u32 s44, s45, s41
	s_mul_i32 s46, s45, s41
	s_mul_i32 s49, s47, s4
	s_mul_hi_u32 s41, s47, s41
	s_mul_hi_u32 s48, s47, s4
	s_add_u32 s41, s41, s49
	s_addc_u32 s48, 0, s48
	s_add_u32 s41, s41, s46
	s_mul_hi_u32 s5, s45, s4
	s_addc_u32 s41, s48, s44
	s_addc_u32 s5, s5, 0
	s_mul_i32 s4, s45, s4
	s_add_u32 s4, s41, s4
	s_addc_u32 s41, 0, s5
	s_add_u32 s44, s47, s4
	s_cselect_b64 s[4:5], -1, 0
	s_cmp_lg_u64 s[4:5], 0
	v_add_co_u32_e32 v3, vcc, v0, v7
	s_addc_u32 s41, s45, s41
	v_xor_b32_e32 v8, v3, v7
	v_mad_u64_u32 v[3:4], s[4:5], v8, s41, 0
	v_mul_hi_u32 v6, v8, s44
	v_addc_co_u32_e32 v5, vcc, v1, v7, vcc
	v_xor_b32_e32 v9, v5, v7
	v_add_co_u32_e32 v12, vcc, v6, v3
	v_addc_co_u32_e32 v13, vcc, 0, v4, vcc
	v_mad_u64_u32 v[3:4], s[4:5], v9, s44, 0
	v_mad_u64_u32 v[5:6], s[4:5], v9, s41, 0
	v_add_co_u32_e32 v3, vcc, v12, v3
	v_addc_co_u32_e32 v3, vcc, v13, v4, vcc
	v_addc_co_u32_e32 v4, vcc, 0, v6, vcc
	v_add_co_u32_e32 v5, vcc, v3, v5
	v_addc_co_u32_e32 v6, vcc, 0, v4, vcc
	v_mul_lo_u32 v12, s43, v5
	v_mul_lo_u32 v13, s42, v6
	v_mad_u64_u32 v[3:4], s[4:5], s42, v5, 0
	v_add3_u32 v4, v4, v13, v12
	v_sub_u32_e32 v12, v9, v4
	v_mov_b32_e32 v13, s43
	v_sub_co_u32_e32 v3, vcc, v8, v3
	v_subb_co_u32_e64 v8, s[4:5], v12, v13, vcc
	v_subrev_co_u32_e64 v12, s[4:5], s42, v3
	v_subbrev_co_u32_e64 v8, s[4:5], 0, v8, s[4:5]
	v_cmp_le_u32_e64 s[4:5], s43, v8
	v_cndmask_b32_e64 v13, 0, -1, s[4:5]
	v_cmp_le_u32_e64 s[4:5], s42, v12
	v_cndmask_b32_e64 v12, 0, -1, s[4:5]
	v_cmp_eq_u32_e64 s[4:5], s43, v8
	v_cndmask_b32_e64 v8, v13, v12, s[4:5]
	v_add_co_u32_e64 v12, s[4:5], 2, v5
	v_subb_co_u32_e32 v4, vcc, v9, v4, vcc
	v_addc_co_u32_e64 v13, s[4:5], 0, v6, s[4:5]
	v_cmp_le_u32_e32 vcc, s43, v4
	v_add_co_u32_e64 v14, s[4:5], 1, v5
	v_cndmask_b32_e64 v9, 0, -1, vcc
	v_cmp_le_u32_e32 vcc, s42, v3
	v_addc_co_u32_e64 v15, s[4:5], 0, v6, s[4:5]
	v_cndmask_b32_e64 v3, 0, -1, vcc
	v_cmp_eq_u32_e32 vcc, s43, v4
	v_cmp_ne_u32_e64 s[4:5], 0, v8
	v_cndmask_b32_e32 v3, v9, v3, vcc
	v_cmp_ne_u32_e32 vcc, 0, v3
	v_cndmask_b32_e64 v4, v14, v12, s[4:5]
	v_cndmask_b32_e64 v8, v15, v13, s[4:5]
	v_cndmask_b32_e32 v4, v5, v4, vcc
	v_xor_b32_e32 v5, s40, v7
	v_cndmask_b32_e32 v3, v6, v8, vcc
	v_xor_b32_e32 v4, v4, v5
	v_xor_b32_e32 v3, v3, v5
	v_sub_co_u32_e32 v4, vcc, v4, v5
	v_subb_co_u32_e32 v5, vcc, v3, v5, vcc
.LBB15_6:                               ;   in Loop: Header=BB15_4 Depth=1
	s_andn2_saveexec_b64 s[4:5], s[6:7]
	s_cbranch_execz .LBB15_8
; %bb.7:                                ;   in Loop: Header=BB15_4 Depth=1
	v_cvt_f32_u32_e32 v3, s24
	s_sub_i32 s6, 0, s24
	v_rcp_iflag_f32_e32 v3, v3
	v_mul_f32_e32 v3, 0x4f7ffffe, v3
	v_cvt_u32_f32_e32 v3, v3
	v_mul_lo_u32 v4, s6, v3
	v_mul_hi_u32 v4, v3, v4
	v_add_u32_e32 v3, v3, v4
	v_mul_hi_u32 v3, v0, v3
	v_mul_lo_u32 v4, v3, s24
	v_add_u32_e32 v5, 1, v3
	v_sub_u32_e32 v4, v0, v4
	v_subrev_u32_e32 v6, s24, v4
	v_cmp_le_u32_e32 vcc, s24, v4
	v_cndmask_b32_e32 v4, v4, v6, vcc
	v_cndmask_b32_e32 v3, v3, v5, vcc
	v_add_u32_e32 v5, 1, v3
	v_cmp_le_u32_e32 vcc, s24, v4
	v_cndmask_b32_e32 v4, v3, v5, vcc
	v_mov_b32_e32 v5, v2
.LBB15_8:                               ;   in Loop: Header=BB15_4 Depth=1
	s_or_b64 exec, exec, s[4:5]
	v_or_b32_e32 v3, s15, v5
	v_cmp_ne_u64_e32 vcc, 0, v[2:3]
                                        ; implicit-def: $vgpr6_vgpr7
	s_and_saveexec_b64 s[4:5], vcc
	s_xor_b64 s[6:7], exec, s[4:5]
	s_cbranch_execz .LBB15_10
; %bb.9:                                ;   in Loop: Header=BB15_4 Depth=1
	s_ashr_i32 s42, s15, 31
	s_add_u32 s4, s14, s42
	s_mov_b32 s43, s42
	s_addc_u32 s5, s15, s42
	s_xor_b64 s[44:45], s[4:5], s[42:43]
	v_cvt_f32_u32_e32 v3, s44
	v_cvt_f32_u32_e32 v6, s45
	s_sub_u32 s41, 0, s44
	s_subb_u32 s43, 0, s45
	v_mac_f32_e32 v3, 0x4f800000, v6
	v_rcp_f32_e32 v3, v3
	v_mul_f32_e32 v3, 0x5f7ffffc, v3
	v_mul_f32_e32 v6, 0x2f800000, v3
	v_trunc_f32_e32 v6, v6
	v_mac_f32_e32 v3, 0xcf800000, v6
	v_cvt_u32_f32_e32 v6, v6
	v_cvt_u32_f32_e32 v3, v3
	v_readfirstlane_b32 s46, v6
	v_readfirstlane_b32 s4, v3
	s_mul_i32 s5, s41, s46
	s_mul_hi_u32 s48, s41, s4
	s_mul_i32 s47, s43, s4
	s_add_i32 s5, s48, s5
	s_add_i32 s5, s5, s47
	s_mul_i32 s49, s41, s4
	s_mul_i32 s48, s4, s5
	s_mul_hi_u32 s50, s4, s49
	s_mul_hi_u32 s47, s4, s5
	s_add_u32 s48, s50, s48
	s_addc_u32 s47, 0, s47
	s_mul_hi_u32 s51, s46, s49
	s_mul_i32 s49, s46, s49
	s_add_u32 s48, s48, s49
	s_mul_hi_u32 s50, s46, s5
	s_addc_u32 s47, s47, s51
	s_addc_u32 s48, s50, 0
	s_mul_i32 s5, s46, s5
	s_add_u32 s5, s47, s5
	s_addc_u32 s47, 0, s48
	s_add_u32 s48, s4, s5
	s_cselect_b64 s[4:5], -1, 0
	s_cmp_lg_u64 s[4:5], 0
	s_addc_u32 s46, s46, s47
	s_mul_i32 s4, s41, s46
	s_mul_hi_u32 s5, s41, s48
	s_add_i32 s4, s5, s4
	s_mul_i32 s43, s43, s48
	s_add_i32 s4, s4, s43
	s_mul_i32 s41, s41, s48
	s_mul_hi_u32 s43, s46, s41
	s_mul_i32 s47, s46, s41
	s_mul_i32 s50, s48, s4
	s_mul_hi_u32 s41, s48, s41
	s_mul_hi_u32 s49, s48, s4
	s_add_u32 s41, s41, s50
	s_addc_u32 s49, 0, s49
	s_add_u32 s41, s41, s47
	s_mul_hi_u32 s5, s46, s4
	s_addc_u32 s41, s49, s43
	s_addc_u32 s5, s5, 0
	s_mul_i32 s4, s46, s4
	s_add_u32 s4, s41, s4
	s_addc_u32 s41, 0, s5
	s_add_u32 s43, s48, s4
	s_cselect_b64 s[4:5], -1, 0
	v_ashrrev_i32_e32 v3, 31, v5
	s_cmp_lg_u64 s[4:5], 0
	v_add_co_u32_e32 v6, vcc, v4, v3
	s_addc_u32 s41, s46, s41
	v_xor_b32_e32 v9, v6, v3
	v_addc_co_u32_e32 v7, vcc, v5, v3, vcc
	v_mad_u64_u32 v[5:6], s[4:5], v9, s41, 0
	v_mul_hi_u32 v8, v9, s43
	v_xor_b32_e32 v12, v7, v3
	v_xor_b32_e32 v3, s42, v3
	v_add_co_u32_e32 v13, vcc, v8, v5
	v_addc_co_u32_e32 v14, vcc, 0, v6, vcc
	v_mad_u64_u32 v[5:6], s[4:5], v12, s43, 0
	v_mad_u64_u32 v[7:8], s[4:5], v12, s41, 0
	v_add_co_u32_e32 v5, vcc, v13, v5
	v_addc_co_u32_e32 v5, vcc, v14, v6, vcc
	v_addc_co_u32_e32 v6, vcc, 0, v8, vcc
	v_add_co_u32_e32 v7, vcc, v5, v7
	v_addc_co_u32_e32 v8, vcc, 0, v6, vcc
	v_mul_lo_u32 v13, s45, v7
	v_mul_lo_u32 v14, s44, v8
	v_mad_u64_u32 v[5:6], s[4:5], s44, v7, 0
	v_add3_u32 v6, v6, v14, v13
	v_sub_u32_e32 v13, v12, v6
	v_mov_b32_e32 v14, s45
	v_sub_co_u32_e32 v5, vcc, v9, v5
	v_subb_co_u32_e64 v9, s[4:5], v13, v14, vcc
	v_subrev_co_u32_e64 v13, s[4:5], s44, v5
	v_subbrev_co_u32_e64 v9, s[4:5], 0, v9, s[4:5]
	v_cmp_le_u32_e64 s[4:5], s45, v9
	v_cndmask_b32_e64 v14, 0, -1, s[4:5]
	v_cmp_le_u32_e64 s[4:5], s44, v13
	v_cndmask_b32_e64 v13, 0, -1, s[4:5]
	v_cmp_eq_u32_e64 s[4:5], s45, v9
	v_cndmask_b32_e64 v9, v14, v13, s[4:5]
	v_add_co_u32_e64 v13, s[4:5], 2, v7
	v_subb_co_u32_e32 v6, vcc, v12, v6, vcc
	v_addc_co_u32_e64 v14, s[4:5], 0, v8, s[4:5]
	v_cmp_le_u32_e32 vcc, s45, v6
	v_add_co_u32_e64 v15, s[4:5], 1, v7
	v_cndmask_b32_e64 v12, 0, -1, vcc
	v_cmp_le_u32_e32 vcc, s44, v5
	v_addc_co_u32_e64 v16, s[4:5], 0, v8, s[4:5]
	v_cndmask_b32_e64 v5, 0, -1, vcc
	v_cmp_eq_u32_e32 vcc, s45, v6
	v_cmp_ne_u32_e64 s[4:5], 0, v9
	v_cndmask_b32_e32 v5, v12, v5, vcc
	v_cmp_ne_u32_e32 vcc, 0, v5
	v_cndmask_b32_e64 v6, v15, v13, s[4:5]
	v_cndmask_b32_e64 v9, v16, v14, s[4:5]
	v_cndmask_b32_e32 v6, v7, v6, vcc
	v_cndmask_b32_e32 v5, v8, v9, vcc
	v_xor_b32_e32 v6, v6, v3
	v_xor_b32_e32 v5, v5, v3
	v_sub_co_u32_e32 v6, vcc, v6, v3
	v_subb_co_u32_e32 v7, vcc, v5, v3, vcc
.LBB15_10:                              ;   in Loop: Header=BB15_4 Depth=1
	s_andn2_saveexec_b64 s[4:5], s[6:7]
	s_cbranch_execz .LBB15_12
; %bb.11:                               ;   in Loop: Header=BB15_4 Depth=1
	v_cvt_f32_u32_e32 v3, s14
	s_sub_i32 s6, 0, s14
	v_rcp_iflag_f32_e32 v3, v3
	v_mul_f32_e32 v3, 0x4f7ffffe, v3
	v_cvt_u32_f32_e32 v3, v3
	v_mul_lo_u32 v5, s6, v3
	v_mul_hi_u32 v5, v3, v5
	v_add_u32_e32 v3, v3, v5
	v_mul_hi_u32 v3, v4, v3
	v_mul_lo_u32 v5, v3, s14
	v_add_u32_e32 v6, 1, v3
	v_sub_u32_e32 v5, v4, v5
	v_subrev_u32_e32 v7, s14, v5
	v_cmp_le_u32_e32 vcc, s14, v5
	v_cndmask_b32_e32 v5, v5, v7, vcc
	v_cndmask_b32_e32 v3, v3, v6, vcc
	v_add_u32_e32 v6, 1, v3
	v_cmp_le_u32_e32 vcc, s14, v5
	v_cndmask_b32_e32 v6, v3, v6, vcc
	v_mov_b32_e32 v7, v2
.LBB15_12:                              ;   in Loop: Header=BB15_4 Depth=1
	s_or_b64 exec, exec, s[4:5]
	v_or_b32_e32 v3, s13, v7
	v_cmp_ne_u64_e32 vcc, 0, v[2:3]
                                        ; implicit-def: $vgpr8_vgpr9
	s_and_saveexec_b64 s[4:5], vcc
	s_xor_b64 s[6:7], exec, s[4:5]
	s_cbranch_execz .LBB15_14
; %bb.13:                               ;   in Loop: Header=BB15_4 Depth=1
	s_ashr_i32 s42, s13, 31
	s_add_u32 s4, s12, s42
	s_mov_b32 s43, s42
	s_addc_u32 s5, s13, s42
	s_xor_b64 s[44:45], s[4:5], s[42:43]
	v_cvt_f32_u32_e32 v3, s44
	v_cvt_f32_u32_e32 v5, s45
	s_sub_u32 s41, 0, s44
	s_subb_u32 s43, 0, s45
	v_mac_f32_e32 v3, 0x4f800000, v5
	v_rcp_f32_e32 v3, v3
	v_mul_f32_e32 v3, 0x5f7ffffc, v3
	v_mul_f32_e32 v5, 0x2f800000, v3
	v_trunc_f32_e32 v5, v5
	v_mac_f32_e32 v3, 0xcf800000, v5
	v_cvt_u32_f32_e32 v5, v5
	v_cvt_u32_f32_e32 v3, v3
	v_readfirstlane_b32 s46, v5
	v_readfirstlane_b32 s4, v3
	s_mul_i32 s5, s41, s46
	s_mul_hi_u32 s48, s41, s4
	s_mul_i32 s47, s43, s4
	s_add_i32 s5, s48, s5
	s_add_i32 s5, s5, s47
	s_mul_i32 s49, s41, s4
	s_mul_i32 s48, s4, s5
	s_mul_hi_u32 s50, s4, s49
	s_mul_hi_u32 s47, s4, s5
	s_add_u32 s48, s50, s48
	s_addc_u32 s47, 0, s47
	s_mul_hi_u32 s51, s46, s49
	s_mul_i32 s49, s46, s49
	s_add_u32 s48, s48, s49
	s_mul_hi_u32 s50, s46, s5
	s_addc_u32 s47, s47, s51
	s_addc_u32 s48, s50, 0
	s_mul_i32 s5, s46, s5
	s_add_u32 s5, s47, s5
	s_addc_u32 s47, 0, s48
	s_add_u32 s48, s4, s5
	s_cselect_b64 s[4:5], -1, 0
	s_cmp_lg_u64 s[4:5], 0
	s_addc_u32 s46, s46, s47
	s_mul_i32 s4, s41, s46
	s_mul_hi_u32 s5, s41, s48
	s_add_i32 s4, s5, s4
	s_mul_i32 s43, s43, s48
	s_add_i32 s4, s4, s43
	s_mul_i32 s41, s41, s48
	s_mul_hi_u32 s43, s46, s41
	s_mul_i32 s47, s46, s41
	s_mul_i32 s50, s48, s4
	s_mul_hi_u32 s41, s48, s41
	s_mul_hi_u32 s49, s48, s4
	s_add_u32 s41, s41, s50
	s_addc_u32 s49, 0, s49
	s_add_u32 s41, s41, s47
	s_mul_hi_u32 s5, s46, s4
	s_addc_u32 s41, s49, s43
	s_addc_u32 s5, s5, 0
	s_mul_i32 s4, s46, s4
	s_add_u32 s4, s41, s4
	s_addc_u32 s41, 0, s5
	s_add_u32 s43, s48, s4
	s_cselect_b64 s[4:5], -1, 0
	v_ashrrev_i32_e32 v3, 31, v7
	s_cmp_lg_u64 s[4:5], 0
	v_add_co_u32_e32 v5, vcc, v6, v3
	s_addc_u32 s41, s46, s41
	v_xor_b32_e32 v5, v5, v3
	v_addc_co_u32_e32 v9, vcc, v7, v3, vcc
	v_mad_u64_u32 v[7:8], s[4:5], v5, s41, 0
	v_mul_hi_u32 v12, v5, s43
	v_xor_b32_e32 v9, v9, v3
	v_xor_b32_e32 v3, s42, v3
	v_add_co_u32_e32 v14, vcc, v12, v7
	v_addc_co_u32_e32 v15, vcc, 0, v8, vcc
	v_mad_u64_u32 v[7:8], s[4:5], v9, s43, 0
	v_mad_u64_u32 v[12:13], s[4:5], v9, s41, 0
	v_add_co_u32_e32 v7, vcc, v14, v7
	v_addc_co_u32_e32 v7, vcc, v15, v8, vcc
	v_addc_co_u32_e32 v8, vcc, 0, v13, vcc
	v_add_co_u32_e32 v12, vcc, v7, v12
	v_addc_co_u32_e32 v7, vcc, 0, v8, vcc
	v_mul_lo_u32 v13, s45, v12
	v_mul_lo_u32 v14, s44, v7
	v_mad_u64_u32 v[7:8], s[4:5], s44, v12, 0
	v_add3_u32 v8, v8, v14, v13
	v_sub_u32_e32 v13, v9, v8
	v_mov_b32_e32 v14, s45
	v_sub_co_u32_e32 v5, vcc, v5, v7
	v_subb_co_u32_e64 v7, s[4:5], v13, v14, vcc
	v_subrev_co_u32_e64 v13, s[4:5], s44, v5
	v_subbrev_co_u32_e64 v7, s[4:5], 0, v7, s[4:5]
	v_cmp_le_u32_e64 s[4:5], s45, v7
	v_subb_co_u32_e32 v8, vcc, v9, v8, vcc
	v_cndmask_b32_e64 v14, 0, -1, s[4:5]
	v_cmp_le_u32_e64 s[4:5], s44, v13
	v_cmp_le_u32_e32 vcc, s45, v8
	v_cndmask_b32_e64 v13, 0, -1, s[4:5]
	v_cmp_eq_u32_e64 s[4:5], s45, v7
	v_cndmask_b32_e64 v9, 0, -1, vcc
	v_cmp_le_u32_e32 vcc, s44, v5
	v_cndmask_b32_e64 v7, v14, v13, s[4:5]
	v_cndmask_b32_e64 v5, 0, -1, vcc
	v_cmp_eq_u32_e32 vcc, s45, v8
	v_add_co_u32_e64 v13, s[4:5], 2, v12
	v_add_co_u32_e64 v14, s[4:5], 1, v12
	v_cndmask_b32_e32 v5, v9, v5, vcc
	v_cmp_ne_u32_e32 vcc, 0, v7
	v_cndmask_b32_e32 v7, v14, v13, vcc
	v_cmp_ne_u32_e32 vcc, 0, v5
	v_cndmask_b32_e32 v5, v12, v7, vcc
	v_xor_b32_e32 v5, v5, v3
	v_sub_co_u32_e32 v8, vcc, v5, v3
.LBB15_14:                              ;   in Loop: Header=BB15_4 Depth=1
	s_andn2_saveexec_b64 s[4:5], s[6:7]
	s_cbranch_execz .LBB15_16
; %bb.15:                               ;   in Loop: Header=BB15_4 Depth=1
	v_cvt_f32_u32_e32 v3, s12
	s_sub_i32 s6, 0, s12
	v_rcp_iflag_f32_e32 v3, v3
	v_mul_f32_e32 v3, 0x4f7ffffe, v3
	v_cvt_u32_f32_e32 v3, v3
	v_mul_lo_u32 v5, s6, v3
	v_mul_hi_u32 v5, v3, v5
	v_add_u32_e32 v3, v3, v5
	v_mul_hi_u32 v3, v6, v3
	v_mul_lo_u32 v5, v3, s12
	v_add_u32_e32 v7, 1, v3
	v_sub_u32_e32 v5, v6, v5
	v_subrev_u32_e32 v8, s12, v5
	v_cmp_le_u32_e32 vcc, s12, v5
	v_cndmask_b32_e32 v5, v5, v8, vcc
	v_cndmask_b32_e32 v3, v3, v7, vcc
	v_add_u32_e32 v7, 1, v3
	v_cmp_le_u32_e32 vcc, s12, v5
	v_cndmask_b32_e32 v8, v3, v7, vcc
.LBB15_16:                              ;   in Loop: Header=BB15_4 Depth=1
	s_or_b64 exec, exec, s[4:5]
	v_mul_lo_u32 v5, v6, s14
	v_mov_b32_e32 v3, 0
	v_sub_u32_e32 v5, v4, v5
	v_add_u32_e32 v9, s20, v5
	v_cmp_le_i32_e32 vcc, s16, v9
	v_mov_b32_e32 v5, 0
	s_and_saveexec_b64 s[4:5], vcc
	s_cbranch_execz .LBB15_18
; %bb.17:                               ;   in Loop: Header=BB15_4 Depth=1
	v_subrev_u32_e32 v5, s16, v9
	v_mul_hi_u32 v7, v5, v10
	v_mul_lo_u32 v12, v7, s33
	v_add_u32_e32 v13, 1, v7
	v_sub_u32_e32 v5, v5, v12
	v_cmp_le_u32_e32 vcc, s33, v5
	v_subrev_u32_e32 v12, s33, v5
	v_cndmask_b32_e32 v7, v7, v13, vcc
	v_cndmask_b32_e32 v5, v5, v12, vcc
	v_add_u32_e32 v12, 1, v7
	v_cmp_le_u32_e32 vcc, s33, v5
	v_cndmask_b32_e32 v5, v7, v12, vcc
	v_xor_b32_e32 v5, s55, v5
	v_subrev_u32_e32 v5, s55, v5
	v_add_u32_e32 v5, 1, v5
.LBB15_18:                              ;   in Loop: Header=BB15_4 Depth=1
	s_or_b64 exec, exec, s[4:5]
	v_mul_lo_u32 v4, v4, s24
	v_sub_u32_e32 v4, v0, v4
	v_add_u32_e32 v7, s21, v4
	v_cmp_le_i32_e32 vcc, s17, v7
	s_and_saveexec_b64 s[4:5], vcc
	s_cbranch_execz .LBB15_20
; %bb.19:                               ;   in Loop: Header=BB15_4 Depth=1
	v_subrev_u32_e32 v3, s17, v7
	v_mul_hi_u32 v4, v3, v11
	v_mul_lo_u32 v12, v4, s35
	v_add_u32_e32 v13, 1, v4
	v_sub_u32_e32 v3, v3, v12
	v_cmp_le_u32_e32 vcc, s35, v3
	v_subrev_u32_e32 v12, s35, v3
	v_cndmask_b32_e32 v4, v4, v13, vcc
	v_cndmask_b32_e32 v3, v3, v12, vcc
	v_add_u32_e32 v12, 1, v4
	v_cmp_le_u32_e32 vcc, s35, v3
	v_cndmask_b32_e32 v3, v4, v12, vcc
	v_xor_b32_e32 v3, s56, v3
	v_subrev_u32_e32 v3, s56, v3
	v_add_u32_e32 v3, 1, v3
.LBB15_20:                              ;   in Loop: Header=BB15_4 Depth=1
	s_or_b64 exec, exec, s[4:5]
	v_sub_u32_e32 v4, 0, v9
	v_max_i32_e32 v4, v9, v4
	v_mul_hi_u32 v12, v4, v10
	v_ashrrev_i32_e32 v9, 31, v9
	v_xor_b32_e32 v9, s55, v9
	v_mul_lo_u32 v13, v12, s33
	v_add_u32_e32 v14, 1, v12
	v_sub_u32_e32 v4, v4, v13
	v_cmp_le_u32_e32 vcc, s33, v4
	v_subrev_u32_e32 v13, s33, v4
	v_cndmask_b32_e32 v12, v12, v14, vcc
	v_cndmask_b32_e32 v4, v4, v13, vcc
	v_add_u32_e32 v13, 1, v12
	v_cmp_le_u32_e32 vcc, s33, v4
	v_cndmask_b32_e32 v4, v12, v13, vcc
	v_xor_b32_e32 v4, v4, v9
	v_sub_u32_e32 v4, v4, v9
	v_add_u32_e32 v4, 1, v4
	v_min_i32_e32 v12, s26, v4
	v_cmp_lt_i32_e32 vcc, v5, v12
	v_mov_b32_e32 v4, 0
	s_and_saveexec_b64 s[42:43], vcc
	s_cbranch_execz .LBB15_3
; %bb.21:                               ;   in Loop: Header=BB15_4 Depth=1
	v_sub_u32_e32 v4, 0, v7
	v_max_i32_e32 v4, v7, v4
	v_mul_hi_u32 v9, v4, v11
	v_mul_lo_u32 v13, v8, s12
	v_ashrrev_i32_e32 v7, 31, v7
	v_xor_b32_e32 v15, s56, v7
	v_mul_lo_u32 v14, v9, s35
	v_sub_u32_e32 v6, v6, v13
	v_add_u32_e32 v7, 1, v9
	v_ashrrev_i32_e32 v16, 31, v8
	v_sub_u32_e32 v4, v4, v14
	v_cmp_le_u32_e32 vcc, s35, v4
	v_cndmask_b32_e32 v9, v9, v7, vcc
	v_ashrrev_i32_e32 v7, 31, v6
	v_mad_u64_u32 v[13:14], s[4:5], v8, s12, v[6:7]
	v_mul_lo_u32 v6, v8, s13
	v_mul_lo_u32 v7, v16, s12
	v_subrev_u32_e32 v8, s35, v4
	v_cndmask_b32_e32 v4, v4, v8, vcc
	v_add_u32_e32 v8, 1, v9
	v_add3_u32 v14, v7, v14, v6
	v_ashrrev_i32_e32 v6, 31, v5
	v_lshlrev_b64 v[6:7], 2, v[5:6]
	v_mul_lo_u32 v16, s31, v13
	v_mul_lo_u32 v14, s30, v14
	v_mad_u64_u32 v[6:7], s[4:5], s30, v13, v[6:7]
	v_cmp_le_u32_e32 vcc, s35, v4
	v_cndmask_b32_e32 v4, v9, v8, vcc
	v_xor_b32_e32 v4, v4, v15
	v_sub_u32_e32 v9, v4, v15
	v_ashrrev_i32_e32 v4, 31, v3
	v_add3_u32 v13, v16, v7, v14
	v_lshlrev_b64 v[7:8], 2, v[3:4]
	v_mul_lo_u32 v4, s28, v13
	v_mul_lo_u32 v14, s29, v6
	v_mad_u64_u32 v[6:7], s[4:5], s28, v6, v[7:8]
	v_add_u32_e32 v8, 1, v9
	v_min_i32_e32 v13, s28, v8
	v_mul_lo_u32 v8, s19, v3
	v_add3_u32 v4, v14, v7, v4
	v_mov_b32_e32 v7, s11
	v_add_co_u32_e32 v6, vcc, s10, v6
	v_cmp_lt_i32_e64 s[4:5], v3, v13
	v_addc_co_u32_e32 v7, vcc, v7, v4, vcc
	v_add_u32_e32 v14, s27, v8
	v_add_u32_e32 v15, s57, v8
	v_sub_u32_e32 v16, s21, v8
	v_mov_b32_e32 v4, 0
	s_mov_b64 s[44:45], 0
	s_branch .LBB15_24
.LBB15_22:                              ;   in Loop: Header=BB15_24 Depth=2
	s_or_b64 exec, exec, s[48:49]
.LBB15_23:                              ;   in Loop: Header=BB15_24 Depth=2
	s_or_b64 exec, exec, s[46:47]
	v_add_u32_e32 v5, 1, v5
	v_cmp_ge_i32_e32 vcc, v5, v12
	v_mov_b32_e32 v8, s37
	s_or_b64 s[44:45], vcc, s[44:45]
	v_add_co_u32_e32 v6, vcc, s36, v6
	v_addc_co_u32_e32 v7, vcc, v7, v8, vcc
	s_andn2_b64 exec, exec, s[44:45]
	s_cbranch_execz .LBB15_2
.LBB15_24:                              ;   Parent Loop BB15_4 Depth=1
                                        ; =>  This Loop Header: Depth=2
                                        ;       Child Loop BB15_27 Depth 3
	s_and_saveexec_b64 s[46:47], s[4:5]
	s_cbranch_execz .LBB15_23
; %bb.25:                               ;   in Loop: Header=BB15_24 Depth=2
	v_mul_lo_u32 v8, v5, s18
	s_mov_b64 s[48:49], 0
	v_mov_b32_e32 v20, v15
	v_mov_b32_e32 v21, v14
	v_subrev_u32_e32 v8, s20, v8
	v_add_u32_e32 v9, s16, v8
	v_min_i32_e32 v9, s53, v9
	v_max_i32_e32 v18, 0, v8
	v_min_i32_e32 v19, s14, v9
	v_sub_u32_e32 v17, v9, v8
	v_mov_b32_e32 v9, v7
	v_cmp_gt_i32_e64 s[6:7], v19, v18
	v_sub_u32_e32 v18, v19, v18
	v_mov_b32_e32 v19, v16
	v_mov_b32_e32 v8, v6
	;; [unrolled: 1-line block ×3, first 2 shown]
	s_branch .LBB15_27
.LBB15_26:                              ;   in Loop: Header=BB15_27 Depth=3
	s_or_b64 exec, exec, s[50:51]
	v_add_co_u32_e32 v8, vcc, 4, v8
	v_add_u32_e32 v22, 1, v22
	v_addc_co_u32_e32 v9, vcc, 0, v9, vcc
	v_cmp_ge_i32_e32 vcc, v22, v13
	v_add_u32_e32 v21, s19, v21
	v_add_u32_e32 v20, s19, v20
	s_or_b64 s[48:49], vcc, s[48:49]
	v_subrev_u32_e32 v19, s19, v19
	s_andn2_b64 exec, exec, s[48:49]
	s_cbranch_execz .LBB15_22
.LBB15_27:                              ;   Parent Loop BB15_4 Depth=1
                                        ;     Parent Loop BB15_24 Depth=2
                                        ; =>    This Inner Loop Header: Depth=3
	v_add_u32_e32 v24, s17, v21
	v_mov_b32_e32 v25, s24
	v_max_i32_e32 v23, 0, v21
	v_min3_i32 v24, v24, s54, v25
	v_cmp_gt_i32_e32 vcc, v24, v23
	s_and_b64 s[58:59], s[6:7], vcc
	s_and_saveexec_b64 s[50:51], s[58:59]
	s_cbranch_execz .LBB15_26
; %bb.28:                               ;   in Loop: Header=BB15_27 Depth=3
	global_load_dword v25, v[8:9], off
	v_min_i32_e32 v26, s54, v20
	v_sub_u32_e32 v23, v24, v23
	v_add_u32_e32 v24, v26, v19
	v_mul_lo_u32 v23, v23, v18
	v_mul_lo_u32 v24, v24, v17
	v_mov_b32_e32 v26, s34
	v_cndmask_b32_e64 v23, v23, v24, s[0:1]
	v_cndmask_b32_e64 v23, v23, v26, s[2:3]
	v_cvt_f32_i32_e32 v23, v23
	s_waitcnt vmcnt(0)
	v_div_scale_f32 v24, s[58:59], v23, v23, v25
	v_div_scale_f32 v26, vcc, v25, v23, v25
	v_rcp_f32_e32 v27, v24
	v_fma_f32 v28, -v24, v27, 1.0
	v_fmac_f32_e32 v27, v28, v27
	v_mul_f32_e32 v28, v26, v27
	v_fma_f32 v29, -v24, v28, v26
	v_fmac_f32_e32 v28, v29, v27
	v_fma_f32 v24, -v24, v28, v26
	v_div_fmas_f32 v24, v24, v27, v28
	v_div_fixup_f32 v23, v24, v23, v25
	v_add_f32_e32 v4, v4, v23
	s_branch .LBB15_26
.LBB15_29:
	s_endpgm
	.section	.rodata,"a",@progbits
	.p2align	6, 0x0
	.amdhsa_kernel _ZN2at6native12_GLOBAL__N_134avg_pool2d_backward_out_cuda_frameIfflEEvT1_PKT_llllliiiiiiPS4_ibb
		.amdhsa_group_segment_fixed_size 0
		.amdhsa_private_segment_fixed_size 0
		.amdhsa_kernarg_size 352
		.amdhsa_user_sgpr_count 6
		.amdhsa_user_sgpr_private_segment_buffer 1
		.amdhsa_user_sgpr_dispatch_ptr 0
		.amdhsa_user_sgpr_queue_ptr 0
		.amdhsa_user_sgpr_kernarg_segment_ptr 1
		.amdhsa_user_sgpr_dispatch_id 0
		.amdhsa_user_sgpr_flat_scratch_init 0
		.amdhsa_user_sgpr_private_segment_size 0
		.amdhsa_uses_dynamic_stack 0
		.amdhsa_system_sgpr_private_segment_wavefront_offset 0
		.amdhsa_system_sgpr_workgroup_id_x 1
		.amdhsa_system_sgpr_workgroup_id_y 0
		.amdhsa_system_sgpr_workgroup_id_z 0
		.amdhsa_system_sgpr_workgroup_info 0
		.amdhsa_system_vgpr_workitem_id 0
		.amdhsa_next_free_vgpr 30
		.amdhsa_next_free_sgpr 60
		.amdhsa_reserve_vcc 1
		.amdhsa_reserve_flat_scratch 0
		.amdhsa_float_round_mode_32 0
		.amdhsa_float_round_mode_16_64 0
		.amdhsa_float_denorm_mode_32 3
		.amdhsa_float_denorm_mode_16_64 3
		.amdhsa_dx10_clamp 1
		.amdhsa_ieee_mode 1
		.amdhsa_fp16_overflow 0
		.amdhsa_exception_fp_ieee_invalid_op 0
		.amdhsa_exception_fp_denorm_src 0
		.amdhsa_exception_fp_ieee_div_zero 0
		.amdhsa_exception_fp_ieee_overflow 0
		.amdhsa_exception_fp_ieee_underflow 0
		.amdhsa_exception_fp_ieee_inexact 0
		.amdhsa_exception_int_div_zero 0
	.end_amdhsa_kernel
	.section	.text._ZN2at6native12_GLOBAL__N_134avg_pool2d_backward_out_cuda_frameIfflEEvT1_PKT_llllliiiiiiPS4_ibb,"axG",@progbits,_ZN2at6native12_GLOBAL__N_134avg_pool2d_backward_out_cuda_frameIfflEEvT1_PKT_llllliiiiiiPS4_ibb,comdat
.Lfunc_end15:
	.size	_ZN2at6native12_GLOBAL__N_134avg_pool2d_backward_out_cuda_frameIfflEEvT1_PKT_llllliiiiiiPS4_ibb, .Lfunc_end15-_ZN2at6native12_GLOBAL__N_134avg_pool2d_backward_out_cuda_frameIfflEEvT1_PKT_llllliiiiiiPS4_ibb
                                        ; -- End function
	.set _ZN2at6native12_GLOBAL__N_134avg_pool2d_backward_out_cuda_frameIfflEEvT1_PKT_llllliiiiiiPS4_ibb.num_vgpr, 30
	.set _ZN2at6native12_GLOBAL__N_134avg_pool2d_backward_out_cuda_frameIfflEEvT1_PKT_llllliiiiiiPS4_ibb.num_agpr, 0
	.set _ZN2at6native12_GLOBAL__N_134avg_pool2d_backward_out_cuda_frameIfflEEvT1_PKT_llllliiiiiiPS4_ibb.numbered_sgpr, 60
	.set _ZN2at6native12_GLOBAL__N_134avg_pool2d_backward_out_cuda_frameIfflEEvT1_PKT_llllliiiiiiPS4_ibb.num_named_barrier, 0
	.set _ZN2at6native12_GLOBAL__N_134avg_pool2d_backward_out_cuda_frameIfflEEvT1_PKT_llllliiiiiiPS4_ibb.private_seg_size, 0
	.set _ZN2at6native12_GLOBAL__N_134avg_pool2d_backward_out_cuda_frameIfflEEvT1_PKT_llllliiiiiiPS4_ibb.uses_vcc, 1
	.set _ZN2at6native12_GLOBAL__N_134avg_pool2d_backward_out_cuda_frameIfflEEvT1_PKT_llllliiiiiiPS4_ibb.uses_flat_scratch, 0
	.set _ZN2at6native12_GLOBAL__N_134avg_pool2d_backward_out_cuda_frameIfflEEvT1_PKT_llllliiiiiiPS4_ibb.has_dyn_sized_stack, 0
	.set _ZN2at6native12_GLOBAL__N_134avg_pool2d_backward_out_cuda_frameIfflEEvT1_PKT_llllliiiiiiPS4_ibb.has_recursion, 0
	.set _ZN2at6native12_GLOBAL__N_134avg_pool2d_backward_out_cuda_frameIfflEEvT1_PKT_llllliiiiiiPS4_ibb.has_indirect_call, 0
	.section	.AMDGPU.csdata,"",@progbits
; Kernel info:
; codeLenInByte = 3436
; TotalNumSgprs: 64
; NumVgprs: 30
; ScratchSize: 0
; MemoryBound: 0
; FloatMode: 240
; IeeeMode: 1
; LDSByteSize: 0 bytes/workgroup (compile time only)
; SGPRBlocks: 7
; VGPRBlocks: 7
; NumSGPRsForWavesPerEU: 64
; NumVGPRsForWavesPerEU: 30
; Occupancy: 8
; WaveLimiterHint : 0
; COMPUTE_PGM_RSRC2:SCRATCH_EN: 0
; COMPUTE_PGM_RSRC2:USER_SGPR: 6
; COMPUTE_PGM_RSRC2:TRAP_HANDLER: 0
; COMPUTE_PGM_RSRC2:TGID_X_EN: 1
; COMPUTE_PGM_RSRC2:TGID_Y_EN: 0
; COMPUTE_PGM_RSRC2:TGID_Z_EN: 0
; COMPUTE_PGM_RSRC2:TIDIG_COMP_CNT: 0
	.section	.text._ZN2at6native12_GLOBAL__N_139avg_pool2d_backward_out_cuda_frame_nhwcIN3c104HalfEfiEEvT1_PKT_llliiiiiiiiPS6_ibb,"axG",@progbits,_ZN2at6native12_GLOBAL__N_139avg_pool2d_backward_out_cuda_frame_nhwcIN3c104HalfEfiEEvT1_PKT_llliiiiiiiiPS6_ibb,comdat
	.globl	_ZN2at6native12_GLOBAL__N_139avg_pool2d_backward_out_cuda_frame_nhwcIN3c104HalfEfiEEvT1_PKT_llliiiiiiiiPS6_ibb ; -- Begin function _ZN2at6native12_GLOBAL__N_139avg_pool2d_backward_out_cuda_frame_nhwcIN3c104HalfEfiEEvT1_PKT_llliiiiiiiiPS6_ibb
	.p2align	8
	.type	_ZN2at6native12_GLOBAL__N_139avg_pool2d_backward_out_cuda_frame_nhwcIN3c104HalfEfiEEvT1_PKT_llliiiiiiiiPS6_ibb,@function
_ZN2at6native12_GLOBAL__N_139avg_pool2d_backward_out_cuda_frame_nhwcIN3c104HalfEfiEEvT1_PKT_llliiiiiiiiPS6_ibb: ; @_ZN2at6native12_GLOBAL__N_139avg_pool2d_backward_out_cuda_frame_nhwcIN3c104HalfEfiEEvT1_PKT_llliiiiiiiiPS6_ibb
; %bb.0:
	s_load_dword s28, s[4:5], 0x0
	s_load_dword s0, s[4:5], 0x64
	v_mov_b32_e32 v2, 0
	v_mov_b32_e32 v1, v2
	;; [unrolled: 1-line block ×3, first 2 shown]
	s_waitcnt lgkmcnt(0)
	s_ashr_i32 s29, s28, 31
	s_add_u32 s30, s4, 0x58
	s_addc_u32 s31, s5, 0
	s_and_b32 s7, s0, 0xffff
	v_mad_u64_u32 v[0:1], s[0:1], s7, v3, v[0:1]
	v_cmp_gt_i64_e32 vcc, s[28:29], v[0:1]
	s_and_saveexec_b64 s[0:1], vcc
	s_cbranch_execz .LBB16_29
; %bb.1:
	s_load_dwordx4 s[24:27], s[4:5], 0x48
	s_load_dword s2, s[4:5], 0x54
	s_load_dwordx8 s[8:15], s[4:5], 0x8
	s_load_dwordx8 s[16:23], s[4:5], 0x28
	s_waitcnt lgkmcnt(0)
	s_bitcmp1_b32 s27, 0
	s_cselect_b64 s[0:1], -1, 0
	s_bitcmp1_b32 s2, 8
	s_cselect_b64 s[2:3], -1, 0
	s_ashr_i32 s5, s16, 31
	s_mul_hi_u32 s27, s10, s16
	s_mul_i32 s5, s10, s5
	s_load_dword s4, s[30:31], 0x0
	s_ashr_i32 s6, s17, 31
	s_add_i32 s5, s27, s5
	s_mul_i32 s27, s11, s16
	s_mul_i32 s30, s10, s16
	s_add_i32 s5, s5, s27
	s_mul_i32 s6, s30, s6
	s_mul_hi_u32 s27, s30, s17
	s_add_i32 s6, s27, s6
	s_abs_i32 s27, s20
	v_cvt_f32_u32_e32 v3, s27
	s_abs_i32 s33, s21
	v_cvt_f32_u32_e32 v4, s33
	s_mul_i32 s5, s5, s17
	v_rcp_iflag_f32_e32 v3, v3
	s_add_i32 s46, s6, s5
	v_rcp_iflag_f32_e32 v4, v4
	s_sub_i32 s5, 0, s27
	v_mul_f32_e32 v3, 0x4f7ffffe, v3
	v_cvt_u32_f32_e32 v3, v3
	v_mul_f32_e32 v4, 0x4f7ffffe, v4
	v_cvt_u32_f32_e32 v4, v4
	s_mul_i32 s47, s30, s17
	v_mul_lo_u32 v5, s5, v3
	s_sub_i32 s5, 0, s33
	v_mul_lo_u32 v6, s5, v4
	s_add_i32 s48, s22, s12
	v_mul_hi_u32 v5, v3, v5
	s_add_i32 s49, s23, s14
	v_mul_hi_u32 v6, v4, v6
	s_waitcnt lgkmcnt(0)
	s_mul_i32 s50, s4, s7
	s_ashr_i32 s51, s20, 31
	v_add_u32_e32 v10, v3, v5
	s_ashr_i32 s52, s21, 31
	v_add_u32_e32 v11, v4, v6
	s_sub_i32 s53, 0, s23
	s_sub_i32 s54, s19, s23
	s_mov_b64 s[30:31], 0
	s_ashr_i32 s34, s11, 31
	s_branch .LBB16_4
.LBB16_2:                               ;   in Loop: Header=BB16_4 Depth=1
	s_or_b64 exec, exec, s[38:39]
	v_cvt_f16_f32_e32 v13, v13
.LBB16_3:                               ;   in Loop: Header=BB16_4 Depth=1
	s_or_b64 exec, exec, s[36:37]
	v_lshlrev_b64 v[3:4], 1, v[0:1]
	v_add_co_u32_e32 v0, vcc, s50, v0
	v_addc_co_u32_e32 v1, vcc, 0, v1, vcc
	v_cmp_le_i64_e32 vcc, s[28:29], v[0:1]
	v_mov_b32_e32 v5, s25
	v_add_co_u32_e64 v3, s[4:5], s24, v3
	v_addc_co_u32_e64 v4, s[4:5], v5, v4, s[4:5]
	s_or_b64 s[30:31], vcc, s[30:31]
	global_store_short v[3:4], v13, off
	s_andn2_b64 exec, exec, s[30:31]
	s_cbranch_execz .LBB16_29
.LBB16_4:                               ; =>This Loop Header: Depth=1
                                        ;     Child Loop BB16_24 Depth 2
                                        ;       Child Loop BB16_27 Depth 3
	v_or_b32_e32 v3, s11, v1
	v_cmp_ne_u64_e32 vcc, 0, v[2:3]
                                        ; implicit-def: $vgpr4_vgpr5
	s_and_saveexec_b64 s[4:5], vcc
	s_xor_b64 s[6:7], exec, s[4:5]
	s_cbranch_execz .LBB16_6
; %bb.5:                                ;   in Loop: Header=BB16_4 Depth=1
	s_add_u32 s4, s10, s34
	s_mov_b32 s35, s34
	s_addc_u32 s5, s11, s34
	s_xor_b64 s[36:37], s[4:5], s[34:35]
	v_cvt_f32_u32_e32 v3, s36
	v_cvt_f32_u32_e32 v4, s37
	s_sub_u32 s35, 0, s36
	s_subb_u32 s38, 0, s37
	v_ashrrev_i32_e32 v7, 31, v1
	v_mac_f32_e32 v3, 0x4f800000, v4
	v_rcp_f32_e32 v3, v3
	v_mul_f32_e32 v3, 0x5f7ffffc, v3
	v_mul_f32_e32 v4, 0x2f800000, v3
	v_trunc_f32_e32 v4, v4
	v_mac_f32_e32 v3, 0xcf800000, v4
	v_cvt_u32_f32_e32 v4, v4
	v_cvt_u32_f32_e32 v3, v3
	v_readfirstlane_b32 s39, v4
	v_readfirstlane_b32 s4, v3
	s_mul_i32 s5, s35, s39
	s_mul_hi_u32 s41, s35, s4
	s_mul_i32 s40, s38, s4
	s_add_i32 s5, s41, s5
	s_add_i32 s5, s5, s40
	s_mul_i32 s42, s35, s4
	s_mul_i32 s41, s4, s5
	s_mul_hi_u32 s43, s4, s42
	s_mul_hi_u32 s40, s4, s5
	s_add_u32 s41, s43, s41
	s_addc_u32 s40, 0, s40
	s_mul_hi_u32 s44, s39, s42
	s_mul_i32 s42, s39, s42
	s_add_u32 s41, s41, s42
	s_mul_hi_u32 s43, s39, s5
	s_addc_u32 s40, s40, s44
	s_addc_u32 s41, s43, 0
	s_mul_i32 s5, s39, s5
	s_add_u32 s5, s40, s5
	s_addc_u32 s40, 0, s41
	s_add_u32 s41, s4, s5
	s_cselect_b64 s[4:5], -1, 0
	s_cmp_lg_u64 s[4:5], 0
	s_addc_u32 s39, s39, s40
	s_mul_i32 s4, s35, s39
	s_mul_hi_u32 s5, s35, s41
	s_add_i32 s4, s5, s4
	s_mul_i32 s38, s38, s41
	s_add_i32 s4, s4, s38
	s_mul_i32 s35, s35, s41
	s_mul_hi_u32 s38, s39, s35
	s_mul_i32 s40, s39, s35
	s_mul_i32 s43, s41, s4
	s_mul_hi_u32 s35, s41, s35
	s_mul_hi_u32 s42, s41, s4
	s_add_u32 s35, s35, s43
	s_addc_u32 s42, 0, s42
	s_add_u32 s35, s35, s40
	s_mul_hi_u32 s5, s39, s4
	s_addc_u32 s35, s42, s38
	s_addc_u32 s5, s5, 0
	s_mul_i32 s4, s39, s4
	s_add_u32 s4, s35, s4
	s_addc_u32 s35, 0, s5
	s_add_u32 s38, s41, s4
	s_cselect_b64 s[4:5], -1, 0
	s_cmp_lg_u64 s[4:5], 0
	v_add_co_u32_e32 v3, vcc, v0, v7
	s_addc_u32 s35, s39, s35
	v_xor_b32_e32 v8, v3, v7
	v_mad_u64_u32 v[3:4], s[4:5], v8, s35, 0
	v_mul_hi_u32 v6, v8, s38
	v_addc_co_u32_e32 v5, vcc, v1, v7, vcc
	v_xor_b32_e32 v9, v5, v7
	v_add_co_u32_e32 v12, vcc, v6, v3
	v_addc_co_u32_e32 v13, vcc, 0, v4, vcc
	v_mad_u64_u32 v[3:4], s[4:5], v9, s38, 0
	v_mad_u64_u32 v[5:6], s[4:5], v9, s35, 0
	v_add_co_u32_e32 v3, vcc, v12, v3
	v_addc_co_u32_e32 v3, vcc, v13, v4, vcc
	v_addc_co_u32_e32 v4, vcc, 0, v6, vcc
	v_add_co_u32_e32 v5, vcc, v3, v5
	v_addc_co_u32_e32 v6, vcc, 0, v4, vcc
	v_mul_lo_u32 v12, s37, v5
	v_mul_lo_u32 v13, s36, v6
	v_mad_u64_u32 v[3:4], s[4:5], s36, v5, 0
	v_add3_u32 v4, v4, v13, v12
	v_sub_u32_e32 v12, v9, v4
	v_mov_b32_e32 v13, s37
	v_sub_co_u32_e32 v3, vcc, v8, v3
	v_subb_co_u32_e64 v8, s[4:5], v12, v13, vcc
	v_subrev_co_u32_e64 v12, s[4:5], s36, v3
	v_subbrev_co_u32_e64 v8, s[4:5], 0, v8, s[4:5]
	v_cmp_le_u32_e64 s[4:5], s37, v8
	v_cndmask_b32_e64 v13, 0, -1, s[4:5]
	v_cmp_le_u32_e64 s[4:5], s36, v12
	v_cndmask_b32_e64 v12, 0, -1, s[4:5]
	v_cmp_eq_u32_e64 s[4:5], s37, v8
	v_cndmask_b32_e64 v8, v13, v12, s[4:5]
	v_add_co_u32_e64 v12, s[4:5], 2, v5
	v_subb_co_u32_e32 v4, vcc, v9, v4, vcc
	v_addc_co_u32_e64 v13, s[4:5], 0, v6, s[4:5]
	v_cmp_le_u32_e32 vcc, s37, v4
	v_add_co_u32_e64 v14, s[4:5], 1, v5
	v_cndmask_b32_e64 v9, 0, -1, vcc
	v_cmp_le_u32_e32 vcc, s36, v3
	v_addc_co_u32_e64 v15, s[4:5], 0, v6, s[4:5]
	v_cndmask_b32_e64 v3, 0, -1, vcc
	v_cmp_eq_u32_e32 vcc, s37, v4
	v_cmp_ne_u32_e64 s[4:5], 0, v8
	v_cndmask_b32_e32 v3, v9, v3, vcc
	v_cmp_ne_u32_e32 vcc, 0, v3
	v_cndmask_b32_e64 v4, v14, v12, s[4:5]
	v_cndmask_b32_e64 v8, v15, v13, s[4:5]
	v_cndmask_b32_e32 v4, v5, v4, vcc
	v_xor_b32_e32 v5, s34, v7
	v_cndmask_b32_e32 v3, v6, v8, vcc
	v_xor_b32_e32 v4, v4, v5
	v_xor_b32_e32 v3, v3, v5
	v_sub_co_u32_e32 v4, vcc, v4, v5
	v_subb_co_u32_e32 v5, vcc, v3, v5, vcc
.LBB16_6:                               ;   in Loop: Header=BB16_4 Depth=1
	s_andn2_saveexec_b64 s[4:5], s[6:7]
	s_cbranch_execz .LBB16_8
; %bb.7:                                ;   in Loop: Header=BB16_4 Depth=1
	v_cvt_f32_u32_e32 v3, s10
	s_sub_i32 s6, 0, s10
	v_rcp_iflag_f32_e32 v3, v3
	v_mul_f32_e32 v3, 0x4f7ffffe, v3
	v_cvt_u32_f32_e32 v3, v3
	v_mul_lo_u32 v4, s6, v3
	v_mul_hi_u32 v4, v3, v4
	v_add_u32_e32 v3, v3, v4
	v_mul_hi_u32 v3, v0, v3
	v_mul_lo_u32 v4, v3, s10
	v_add_u32_e32 v5, 1, v3
	v_sub_u32_e32 v4, v0, v4
	v_subrev_u32_e32 v6, s10, v4
	v_cmp_le_u32_e32 vcc, s10, v4
	v_cndmask_b32_e32 v4, v4, v6, vcc
	v_cndmask_b32_e32 v3, v3, v5, vcc
	v_add_u32_e32 v5, 1, v3
	v_cmp_le_u32_e32 vcc, s10, v4
	v_cndmask_b32_e32 v4, v3, v5, vcc
	v_mov_b32_e32 v5, v2
.LBB16_8:                               ;   in Loop: Header=BB16_4 Depth=1
	s_or_b64 exec, exec, s[4:5]
	v_or_b32_e32 v3, s15, v5
	v_cmp_ne_u64_e32 vcc, 0, v[2:3]
                                        ; implicit-def: $vgpr6_vgpr7
	s_and_saveexec_b64 s[4:5], vcc
	s_xor_b64 s[6:7], exec, s[4:5]
	s_cbranch_execz .LBB16_10
; %bb.9:                                ;   in Loop: Header=BB16_4 Depth=1
	s_ashr_i32 s36, s15, 31
	s_add_u32 s4, s14, s36
	s_mov_b32 s37, s36
	s_addc_u32 s5, s15, s36
	s_xor_b64 s[38:39], s[4:5], s[36:37]
	v_cvt_f32_u32_e32 v3, s38
	v_cvt_f32_u32_e32 v6, s39
	s_sub_u32 s35, 0, s38
	s_subb_u32 s37, 0, s39
	v_mac_f32_e32 v3, 0x4f800000, v6
	v_rcp_f32_e32 v3, v3
	v_mul_f32_e32 v3, 0x5f7ffffc, v3
	v_mul_f32_e32 v6, 0x2f800000, v3
	v_trunc_f32_e32 v6, v6
	v_mac_f32_e32 v3, 0xcf800000, v6
	v_cvt_u32_f32_e32 v6, v6
	v_cvt_u32_f32_e32 v3, v3
	v_readfirstlane_b32 s40, v6
	v_readfirstlane_b32 s4, v3
	s_mul_i32 s5, s35, s40
	s_mul_hi_u32 s42, s35, s4
	s_mul_i32 s41, s37, s4
	s_add_i32 s5, s42, s5
	s_add_i32 s5, s5, s41
	s_mul_i32 s43, s35, s4
	s_mul_i32 s42, s4, s5
	s_mul_hi_u32 s44, s4, s43
	s_mul_hi_u32 s41, s4, s5
	s_add_u32 s42, s44, s42
	s_addc_u32 s41, 0, s41
	s_mul_hi_u32 s45, s40, s43
	s_mul_i32 s43, s40, s43
	s_add_u32 s42, s42, s43
	s_mul_hi_u32 s44, s40, s5
	s_addc_u32 s41, s41, s45
	s_addc_u32 s42, s44, 0
	s_mul_i32 s5, s40, s5
	s_add_u32 s5, s41, s5
	s_addc_u32 s41, 0, s42
	s_add_u32 s42, s4, s5
	s_cselect_b64 s[4:5], -1, 0
	s_cmp_lg_u64 s[4:5], 0
	s_addc_u32 s40, s40, s41
	s_mul_i32 s4, s35, s40
	s_mul_hi_u32 s5, s35, s42
	s_add_i32 s4, s5, s4
	s_mul_i32 s37, s37, s42
	s_add_i32 s4, s4, s37
	s_mul_i32 s35, s35, s42
	s_mul_hi_u32 s37, s40, s35
	s_mul_i32 s41, s40, s35
	s_mul_i32 s44, s42, s4
	s_mul_hi_u32 s35, s42, s35
	s_mul_hi_u32 s43, s42, s4
	s_add_u32 s35, s35, s44
	s_addc_u32 s43, 0, s43
	s_add_u32 s35, s35, s41
	s_mul_hi_u32 s5, s40, s4
	s_addc_u32 s35, s43, s37
	s_addc_u32 s5, s5, 0
	s_mul_i32 s4, s40, s4
	s_add_u32 s4, s35, s4
	s_addc_u32 s35, 0, s5
	s_add_u32 s37, s42, s4
	s_cselect_b64 s[4:5], -1, 0
	v_ashrrev_i32_e32 v3, 31, v5
	s_cmp_lg_u64 s[4:5], 0
	v_add_co_u32_e32 v6, vcc, v4, v3
	s_addc_u32 s35, s40, s35
	v_xor_b32_e32 v12, v6, v3
	v_mad_u64_u32 v[6:7], s[4:5], v12, s35, 0
	v_mul_hi_u32 v9, v12, s37
	v_addc_co_u32_e32 v8, vcc, v5, v3, vcc
	v_xor_b32_e32 v13, v8, v3
	v_add_co_u32_e32 v14, vcc, v9, v6
	v_addc_co_u32_e32 v15, vcc, 0, v7, vcc
	v_mad_u64_u32 v[6:7], s[4:5], v13, s37, 0
	v_mad_u64_u32 v[8:9], s[4:5], v13, s35, 0
	v_add_co_u32_e32 v6, vcc, v14, v6
	v_addc_co_u32_e32 v6, vcc, v15, v7, vcc
	v_addc_co_u32_e32 v7, vcc, 0, v9, vcc
	v_add_co_u32_e32 v8, vcc, v6, v8
	v_addc_co_u32_e32 v9, vcc, 0, v7, vcc
	v_mul_lo_u32 v14, s39, v8
	v_mul_lo_u32 v15, s38, v9
	v_mad_u64_u32 v[6:7], s[4:5], s38, v8, 0
	v_xor_b32_e32 v3, s36, v3
	v_add3_u32 v7, v7, v15, v14
	v_sub_u32_e32 v14, v13, v7
	v_mov_b32_e32 v15, s39
	v_sub_co_u32_e32 v6, vcc, v12, v6
	v_subb_co_u32_e64 v12, s[4:5], v14, v15, vcc
	v_subrev_co_u32_e64 v14, s[4:5], s38, v6
	v_subbrev_co_u32_e64 v12, s[4:5], 0, v12, s[4:5]
	v_cmp_le_u32_e64 s[4:5], s39, v12
	v_cndmask_b32_e64 v15, 0, -1, s[4:5]
	v_cmp_le_u32_e64 s[4:5], s38, v14
	v_cndmask_b32_e64 v14, 0, -1, s[4:5]
	v_cmp_eq_u32_e64 s[4:5], s39, v12
	v_cndmask_b32_e64 v12, v15, v14, s[4:5]
	v_add_co_u32_e64 v14, s[4:5], 2, v8
	v_subb_co_u32_e32 v7, vcc, v13, v7, vcc
	v_addc_co_u32_e64 v15, s[4:5], 0, v9, s[4:5]
	v_cmp_le_u32_e32 vcc, s39, v7
	v_add_co_u32_e64 v16, s[4:5], 1, v8
	v_cndmask_b32_e64 v13, 0, -1, vcc
	v_cmp_le_u32_e32 vcc, s38, v6
	v_addc_co_u32_e64 v17, s[4:5], 0, v9, s[4:5]
	v_cndmask_b32_e64 v6, 0, -1, vcc
	v_cmp_eq_u32_e32 vcc, s39, v7
	v_cmp_ne_u32_e64 s[4:5], 0, v12
	v_cndmask_b32_e32 v6, v13, v6, vcc
	v_cndmask_b32_e64 v12, v17, v15, s[4:5]
	v_cmp_ne_u32_e32 vcc, 0, v6
	v_cndmask_b32_e64 v7, v16, v14, s[4:5]
	v_cndmask_b32_e32 v6, v9, v12, vcc
	v_cndmask_b32_e32 v7, v8, v7, vcc
	v_xor_b32_e32 v8, v6, v3
	v_xor_b32_e32 v6, v7, v3
	v_sub_co_u32_e32 v6, vcc, v6, v3
	v_subb_co_u32_e32 v7, vcc, v8, v3, vcc
.LBB16_10:                              ;   in Loop: Header=BB16_4 Depth=1
	s_andn2_saveexec_b64 s[4:5], s[6:7]
	s_cbranch_execz .LBB16_12
; %bb.11:                               ;   in Loop: Header=BB16_4 Depth=1
	v_cvt_f32_u32_e32 v3, s14
	s_sub_i32 s6, 0, s14
	v_rcp_iflag_f32_e32 v3, v3
	v_mul_f32_e32 v3, 0x4f7ffffe, v3
	v_cvt_u32_f32_e32 v3, v3
	v_mul_lo_u32 v6, s6, v3
	v_mul_hi_u32 v6, v3, v6
	v_add_u32_e32 v3, v3, v6
	v_mul_hi_u32 v3, v4, v3
	v_mul_lo_u32 v6, v3, s14
	v_add_u32_e32 v7, 1, v3
	v_sub_u32_e32 v6, v4, v6
	v_subrev_u32_e32 v8, s14, v6
	v_cmp_le_u32_e32 vcc, s14, v6
	v_cndmask_b32_e32 v6, v6, v8, vcc
	v_cndmask_b32_e32 v3, v3, v7, vcc
	v_add_u32_e32 v7, 1, v3
	v_cmp_le_u32_e32 vcc, s14, v6
	v_cndmask_b32_e32 v6, v3, v7, vcc
	v_mov_b32_e32 v7, v2
.LBB16_12:                              ;   in Loop: Header=BB16_4 Depth=1
	s_or_b64 exec, exec, s[4:5]
	v_or_b32_e32 v3, s13, v7
	v_cmp_ne_u64_e32 vcc, 0, v[2:3]
                                        ; implicit-def: $vgpr8_vgpr9
	s_and_saveexec_b64 s[4:5], vcc
	s_xor_b64 s[6:7], exec, s[4:5]
	s_cbranch_execz .LBB16_14
; %bb.13:                               ;   in Loop: Header=BB16_4 Depth=1
	s_ashr_i32 s36, s13, 31
	s_add_u32 s4, s12, s36
	s_mov_b32 s37, s36
	s_addc_u32 s5, s13, s36
	s_xor_b64 s[38:39], s[4:5], s[36:37]
	v_cvt_f32_u32_e32 v3, s38
	v_cvt_f32_u32_e32 v8, s39
	s_sub_u32 s35, 0, s38
	s_subb_u32 s37, 0, s39
	v_mac_f32_e32 v3, 0x4f800000, v8
	v_rcp_f32_e32 v3, v3
	v_mul_f32_e32 v3, 0x5f7ffffc, v3
	v_mul_f32_e32 v8, 0x2f800000, v3
	v_trunc_f32_e32 v8, v8
	v_mac_f32_e32 v3, 0xcf800000, v8
	v_cvt_u32_f32_e32 v8, v8
	v_cvt_u32_f32_e32 v3, v3
	v_readfirstlane_b32 s40, v8
	v_readfirstlane_b32 s4, v3
	s_mul_i32 s5, s35, s40
	s_mul_hi_u32 s42, s35, s4
	s_mul_i32 s41, s37, s4
	s_add_i32 s5, s42, s5
	s_add_i32 s5, s5, s41
	s_mul_i32 s43, s35, s4
	s_mul_i32 s42, s4, s5
	s_mul_hi_u32 s44, s4, s43
	s_mul_hi_u32 s41, s4, s5
	s_add_u32 s42, s44, s42
	s_addc_u32 s41, 0, s41
	s_mul_hi_u32 s45, s40, s43
	s_mul_i32 s43, s40, s43
	s_add_u32 s42, s42, s43
	s_mul_hi_u32 s44, s40, s5
	s_addc_u32 s41, s41, s45
	s_addc_u32 s42, s44, 0
	s_mul_i32 s5, s40, s5
	s_add_u32 s5, s41, s5
	s_addc_u32 s41, 0, s42
	s_add_u32 s42, s4, s5
	s_cselect_b64 s[4:5], -1, 0
	s_cmp_lg_u64 s[4:5], 0
	s_addc_u32 s40, s40, s41
	s_mul_i32 s4, s35, s40
	s_mul_hi_u32 s5, s35, s42
	s_add_i32 s4, s5, s4
	s_mul_i32 s37, s37, s42
	s_add_i32 s4, s4, s37
	s_mul_i32 s35, s35, s42
	s_mul_hi_u32 s37, s40, s35
	s_mul_i32 s41, s40, s35
	s_mul_i32 s44, s42, s4
	s_mul_hi_u32 s35, s42, s35
	s_mul_hi_u32 s43, s42, s4
	s_add_u32 s35, s35, s44
	s_addc_u32 s43, 0, s43
	s_add_u32 s35, s35, s41
	s_mul_hi_u32 s5, s40, s4
	s_addc_u32 s35, s43, s37
	s_addc_u32 s5, s5, 0
	s_mul_i32 s4, s40, s4
	s_add_u32 s4, s35, s4
	s_addc_u32 s35, 0, s5
	s_add_u32 s37, s42, s4
	s_cselect_b64 s[4:5], -1, 0
	v_ashrrev_i32_e32 v3, 31, v7
	s_cmp_lg_u64 s[4:5], 0
	v_add_co_u32_e32 v8, vcc, v6, v3
	s_addc_u32 s35, s40, s35
	v_xor_b32_e32 v14, v8, v3
	v_addc_co_u32_e32 v9, vcc, v7, v3, vcc
	v_mad_u64_u32 v[7:8], s[4:5], v14, s35, 0
	v_mul_hi_u32 v12, v14, s37
	v_xor_b32_e32 v9, v9, v3
	v_xor_b32_e32 v3, s36, v3
	v_add_co_u32_e32 v15, vcc, v12, v7
	v_addc_co_u32_e32 v16, vcc, 0, v8, vcc
	v_mad_u64_u32 v[7:8], s[4:5], v9, s37, 0
	v_mad_u64_u32 v[12:13], s[4:5], v9, s35, 0
	v_add_co_u32_e32 v7, vcc, v15, v7
	v_addc_co_u32_e32 v7, vcc, v16, v8, vcc
	v_addc_co_u32_e32 v8, vcc, 0, v13, vcc
	v_add_co_u32_e32 v12, vcc, v7, v12
	v_addc_co_u32_e32 v13, vcc, 0, v8, vcc
	v_mul_lo_u32 v15, s39, v12
	v_mul_lo_u32 v16, s38, v13
	v_mad_u64_u32 v[7:8], s[4:5], s38, v12, 0
	v_add3_u32 v8, v8, v16, v15
	v_sub_u32_e32 v15, v9, v8
	v_mov_b32_e32 v16, s39
	v_sub_co_u32_e32 v7, vcc, v14, v7
	v_subb_co_u32_e64 v14, s[4:5], v15, v16, vcc
	v_subrev_co_u32_e64 v15, s[4:5], s38, v7
	v_subbrev_co_u32_e64 v14, s[4:5], 0, v14, s[4:5]
	v_cmp_le_u32_e64 s[4:5], s39, v14
	v_cndmask_b32_e64 v16, 0, -1, s[4:5]
	v_cmp_le_u32_e64 s[4:5], s38, v15
	v_cndmask_b32_e64 v15, 0, -1, s[4:5]
	v_cmp_eq_u32_e64 s[4:5], s39, v14
	v_cndmask_b32_e64 v14, v16, v15, s[4:5]
	v_add_co_u32_e64 v15, s[4:5], 2, v12
	v_subb_co_u32_e32 v8, vcc, v9, v8, vcc
	v_addc_co_u32_e64 v16, s[4:5], 0, v13, s[4:5]
	v_cmp_le_u32_e32 vcc, s39, v8
	v_add_co_u32_e64 v17, s[4:5], 1, v12
	v_cndmask_b32_e64 v9, 0, -1, vcc
	v_cmp_le_u32_e32 vcc, s38, v7
	v_addc_co_u32_e64 v18, s[4:5], 0, v13, s[4:5]
	v_cndmask_b32_e64 v7, 0, -1, vcc
	v_cmp_eq_u32_e32 vcc, s39, v8
	v_cmp_ne_u32_e64 s[4:5], 0, v14
	v_cndmask_b32_e32 v7, v9, v7, vcc
	v_cmp_ne_u32_e32 vcc, 0, v7
	v_cndmask_b32_e64 v8, v17, v15, s[4:5]
	v_cndmask_b32_e64 v14, v18, v16, s[4:5]
	v_cndmask_b32_e32 v8, v12, v8, vcc
	v_cndmask_b32_e32 v7, v13, v14, vcc
	v_xor_b32_e32 v8, v8, v3
	v_xor_b32_e32 v7, v7, v3
	v_sub_co_u32_e32 v8, vcc, v8, v3
	v_subb_co_u32_e32 v9, vcc, v7, v3, vcc
.LBB16_14:                              ;   in Loop: Header=BB16_4 Depth=1
	s_andn2_saveexec_b64 s[4:5], s[6:7]
	s_cbranch_execz .LBB16_16
; %bb.15:                               ;   in Loop: Header=BB16_4 Depth=1
	v_cvt_f32_u32_e32 v3, s12
	s_sub_i32 s6, 0, s12
	v_rcp_iflag_f32_e32 v3, v3
	v_mul_f32_e32 v3, 0x4f7ffffe, v3
	v_cvt_u32_f32_e32 v3, v3
	v_mul_lo_u32 v7, s6, v3
	v_mul_hi_u32 v7, v3, v7
	v_add_u32_e32 v3, v3, v7
	v_mul_hi_u32 v3, v6, v3
	v_mul_lo_u32 v7, v3, s12
	v_add_u32_e32 v8, 1, v3
	v_sub_u32_e32 v7, v6, v7
	v_subrev_u32_e32 v9, s12, v7
	v_cmp_le_u32_e32 vcc, s12, v7
	v_cndmask_b32_e32 v7, v7, v9, vcc
	v_cndmask_b32_e32 v3, v3, v8, vcc
	v_add_u32_e32 v8, 1, v3
	v_cmp_le_u32_e32 vcc, s12, v7
	v_cndmask_b32_e32 v8, v3, v8, vcc
	v_mov_b32_e32 v9, v2
.LBB16_16:                              ;   in Loop: Header=BB16_4 Depth=1
	s_or_b64 exec, exec, s[4:5]
	v_mul_lo_u32 v7, v8, s12
	v_mov_b32_e32 v3, 0
	v_sub_u32_e32 v13, v6, v7
	v_cmp_le_i32_e32 vcc, s18, v13
	v_mov_b32_e32 v7, 0
	s_and_saveexec_b64 s[4:5], vcc
	s_cbranch_execz .LBB16_18
; %bb.17:                               ;   in Loop: Header=BB16_4 Depth=1
	v_subrev_u32_e32 v7, s18, v13
	v_mul_hi_u32 v12, v7, v10
	v_mul_lo_u32 v14, v12, s27
	v_add_u32_e32 v15, 1, v12
	v_sub_u32_e32 v7, v7, v14
	v_cmp_le_u32_e32 vcc, s27, v7
	v_subrev_u32_e32 v14, s27, v7
	v_cndmask_b32_e32 v12, v12, v15, vcc
	v_cndmask_b32_e32 v7, v7, v14, vcc
	v_add_u32_e32 v14, 1, v12
	v_cmp_le_u32_e32 vcc, s27, v7
	v_cndmask_b32_e32 v7, v12, v14, vcc
	v_xor_b32_e32 v7, s51, v7
	v_subrev_u32_e32 v7, s51, v7
	v_add_u32_e32 v7, 1, v7
.LBB16_18:                              ;   in Loop: Header=BB16_4 Depth=1
	s_or_b64 exec, exec, s[4:5]
	v_mul_lo_u32 v6, v6, s14
	v_sub_u32_e32 v12, v4, v6
	v_cmp_le_i32_e32 vcc, s19, v12
	s_and_saveexec_b64 s[4:5], vcc
	s_cbranch_execz .LBB16_20
; %bb.19:                               ;   in Loop: Header=BB16_4 Depth=1
	v_subrev_u32_e32 v3, s19, v12
	v_mul_hi_u32 v6, v3, v11
	v_mul_lo_u32 v14, v6, s33
	v_add_u32_e32 v15, 1, v6
	v_sub_u32_e32 v3, v3, v14
	v_cmp_le_u32_e32 vcc, s33, v3
	v_subrev_u32_e32 v14, s33, v3
	v_cndmask_b32_e32 v6, v6, v15, vcc
	v_cndmask_b32_e32 v3, v3, v14, vcc
	v_add_u32_e32 v14, 1, v6
	v_cmp_le_u32_e32 vcc, s33, v3
	v_cndmask_b32_e32 v3, v6, v14, vcc
	v_xor_b32_e32 v3, s52, v3
	v_subrev_u32_e32 v3, s52, v3
	v_add_u32_e32 v3, 1, v3
.LBB16_20:                              ;   in Loop: Header=BB16_4 Depth=1
	s_or_b64 exec, exec, s[4:5]
	v_sub_u32_e32 v6, 0, v13
	v_max_i32_e32 v6, v13, v6
	v_mul_hi_u32 v14, v6, v10
	v_ashrrev_i32_e32 v13, 31, v13
	v_xor_b32_e32 v13, s51, v13
	v_mul_lo_u32 v15, v14, s27
	v_add_u32_e32 v16, 1, v14
	v_sub_u32_e32 v6, v6, v15
	v_cmp_le_u32_e32 vcc, s27, v6
	v_subrev_u32_e32 v15, s27, v6
	v_cndmask_b32_e32 v14, v14, v16, vcc
	v_cndmask_b32_e32 v6, v6, v15, vcc
	v_add_u32_e32 v15, 1, v14
	v_cmp_le_u32_e32 vcc, s27, v6
	v_cndmask_b32_e32 v6, v14, v15, vcc
	v_xor_b32_e32 v6, v6, v13
	v_sub_u32_e32 v6, v6, v13
	v_add_u32_e32 v6, 1, v6
	v_min_i32_e32 v6, s16, v6
	v_cmp_lt_i32_e32 vcc, v7, v6
	v_mov_b32_e32 v13, 0
	s_and_saveexec_b64 s[36:37], vcc
	s_cbranch_execz .LBB16_3
; %bb.21:                               ;   in Loop: Header=BB16_4 Depth=1
	v_sub_u32_e32 v15, 0, v12
	v_max_i32_e32 v15, v12, v15
	v_mul_hi_u32 v16, v15, v11
	v_mul_lo_u32 v13, v5, s10
	v_mul_lo_u32 v14, v4, s11
	v_mad_u64_u32 v[4:5], s[4:5], v4, s10, 0
	v_mul_lo_u32 v17, v16, s33
	s_mov_b64 s[38:39], 0
	v_add3_u32 v5, v5, v14, v13
	v_sub_co_u32_e32 v13, vcc, v0, v4
	v_subb_co_u32_e32 v14, vcc, v1, v5, vcc
	v_sub_u32_e32 v5, v15, v17
	v_ashrrev_i32_e32 v4, 31, v12
	v_add_u32_e32 v12, 1, v16
	v_cmp_le_u32_e32 vcc, s33, v5
	v_subrev_u32_e32 v15, s33, v5
	v_cndmask_b32_e32 v12, v16, v12, vcc
	v_cndmask_b32_e32 v5, v5, v15, vcc
	v_add_u32_e32 v15, 1, v12
	v_cmp_le_u32_e32 vcc, s33, v5
	v_cndmask_b32_e32 v5, v12, v15, vcc
	v_mul_lo_u32 v12, s46, v8
	v_mul_lo_u32 v15, s47, v9
	v_mad_u64_u32 v[8:9], s[4:5], s47, v8, 0
	v_xor_b32_e32 v4, s52, v4
	v_xor_b32_e32 v5, v5, v4
	v_add3_u32 v9, v9, v15, v12
	v_lshlrev_b64 v[8:9], 1, v[8:9]
	v_sub_u32_e32 v4, v5, v4
	v_mov_b32_e32 v5, s9
	v_add_co_u32_e32 v12, vcc, s8, v8
	v_addc_co_u32_e32 v15, vcc, v5, v9, vcc
	v_lshlrev_b64 v[8:9], 1, v[13:14]
	v_mul_lo_u32 v13, s21, v3
	v_add_co_u32_e32 v5, vcc, v12, v8
	v_addc_co_u32_e32 v8, vcc, v15, v9, vcc
	v_mul_lo_u32 v9, s17, v7
	v_add_u32_e32 v4, 1, v4
	v_min_i32_e32 v4, s17, v4
	v_cmp_lt_i32_e32 vcc, v3, v4
	v_add_u32_e32 v12, s53, v13
	v_add_u32_e32 v14, s54, v13
	v_sub_u32_e32 v15, s23, v13
	v_mov_b32_e32 v13, 0
	s_branch .LBB16_24
.LBB16_22:                              ;   in Loop: Header=BB16_24 Depth=2
	s_or_b64 exec, exec, s[42:43]
.LBB16_23:                              ;   in Loop: Header=BB16_24 Depth=2
	s_or_b64 exec, exec, s[40:41]
	v_add_u32_e32 v7, 1, v7
	v_cmp_ge_i32_e64 s[4:5], v7, v6
	s_or_b64 s[38:39], s[4:5], s[38:39]
	v_add_u32_e32 v9, s17, v9
	s_andn2_b64 exec, exec, s[38:39]
	s_cbranch_execz .LBB16_2
.LBB16_24:                              ;   Parent Loop BB16_4 Depth=1
                                        ; =>  This Loop Header: Depth=2
                                        ;       Child Loop BB16_27 Depth 3
	s_and_saveexec_b64 s[40:41], vcc
	s_cbranch_execz .LBB16_23
; %bb.25:                               ;   in Loop: Header=BB16_24 Depth=2
	v_mul_lo_u32 v16, v7, s20
	s_mov_b64 s[42:43], 0
	v_mov_b32_e32 v20, v12
	v_mov_b32_e32 v21, v3
	v_subrev_u32_e32 v16, s22, v16
	v_add_u32_e32 v17, s18, v16
	v_min_i32_e32 v17, s48, v17
	v_max_i32_e32 v18, 0, v16
	v_min_i32_e32 v19, s12, v17
	v_sub_u32_e32 v16, v17, v16
	v_cmp_gt_i32_e64 s[4:5], v19, v18
	v_sub_u32_e32 v17, v19, v18
	v_mov_b32_e32 v18, v15
	v_mov_b32_e32 v19, v14
	s_branch .LBB16_27
.LBB16_26:                              ;   in Loop: Header=BB16_27 Depth=3
	s_or_b64 exec, exec, s[44:45]
	v_add_u32_e32 v21, 1, v21
	v_cmp_ge_i32_e64 s[6:7], v21, v4
	v_add_u32_e32 v20, s21, v20
	v_add_u32_e32 v19, s21, v19
	s_or_b64 s[42:43], s[6:7], s[42:43]
	v_subrev_u32_e32 v18, s21, v18
	s_andn2_b64 exec, exec, s[42:43]
	s_cbranch_execz .LBB16_22
.LBB16_27:                              ;   Parent Loop BB16_4 Depth=1
                                        ;     Parent Loop BB16_24 Depth=2
                                        ; =>    This Inner Loop Header: Depth=3
	v_add_u32_e32 v23, s19, v20
	v_mov_b32_e32 v24, s14
	v_max_i32_e32 v22, 0, v20
	v_min3_i32 v23, v23, s49, v24
	v_cmp_gt_i32_e64 s[6:7], v23, v22
	s_and_b64 s[6:7], s[4:5], s[6:7]
	s_and_saveexec_b64 s[44:45], s[6:7]
	s_cbranch_execz .LBB16_26
; %bb.28:                               ;   in Loop: Header=BB16_27 Depth=3
	v_add_u32_e32 v24, v9, v21
	v_ashrrev_i32_e32 v26, 31, v24
	v_mul_lo_u32 v27, s11, v24
	v_mad_u64_u32 v[24:25], s[6:7], s10, v24, 0
	v_mul_lo_u32 v26, s10, v26
	v_sub_u32_e32 v22, v23, v22
	v_mul_lo_u32 v22, v22, v17
	v_mov_b32_e32 v23, s26
	v_add3_u32 v25, v25, v26, v27
	v_lshlrev_b64 v[24:25], 1, v[24:25]
	v_add_co_u32_e64 v24, s[6:7], v5, v24
	v_addc_co_u32_e64 v25, s[6:7], v8, v25, s[6:7]
	global_load_ushort v24, v[24:25], off
	v_min_i32_e32 v25, s49, v19
	v_add_u32_e32 v25, v25, v18
	v_mul_lo_u32 v25, v25, v16
	v_cndmask_b32_e64 v22, v22, v25, s[0:1]
	v_cndmask_b32_e64 v22, v22, v23, s[2:3]
	v_cvt_f32_i32_e32 v22, v22
	v_cvt_f16_f32_e32 v22, v22
	v_cvt_f32_f16_e32 v23, v22
	v_rcp_f32_e32 v25, v23
	s_waitcnt vmcnt(0)
	v_cvt_f32_f16_e32 v26, v24
	v_mul_f32_e32 v27, v26, v25
	v_mad_f32 v28, -v23, v27, v26
	v_mac_f32_e32 v27, v28, v25
	v_mad_f32 v23, -v23, v27, v26
	v_mul_f32_e32 v23, v23, v25
	v_and_b32_e32 v23, 0xff800000, v23
	v_add_f32_e32 v23, v23, v27
	v_cvt_f16_f32_e32 v23, v23
	v_div_fixup_f16 v22, v23, v22, v24
	v_cvt_f32_f16_e32 v22, v22
	v_add_f32_e32 v13, v13, v22
	s_branch .LBB16_26
.LBB16_29:
	s_endpgm
	.section	.rodata,"a",@progbits
	.p2align	6, 0x0
	.amdhsa_kernel _ZN2at6native12_GLOBAL__N_139avg_pool2d_backward_out_cuda_frame_nhwcIN3c104HalfEfiEEvT1_PKT_llliiiiiiiiPS6_ibb
		.amdhsa_group_segment_fixed_size 0
		.amdhsa_private_segment_fixed_size 0
		.amdhsa_kernarg_size 344
		.amdhsa_user_sgpr_count 6
		.amdhsa_user_sgpr_private_segment_buffer 1
		.amdhsa_user_sgpr_dispatch_ptr 0
		.amdhsa_user_sgpr_queue_ptr 0
		.amdhsa_user_sgpr_kernarg_segment_ptr 1
		.amdhsa_user_sgpr_dispatch_id 0
		.amdhsa_user_sgpr_flat_scratch_init 0
		.amdhsa_user_sgpr_private_segment_size 0
		.amdhsa_uses_dynamic_stack 0
		.amdhsa_system_sgpr_private_segment_wavefront_offset 0
		.amdhsa_system_sgpr_workgroup_id_x 1
		.amdhsa_system_sgpr_workgroup_id_y 0
		.amdhsa_system_sgpr_workgroup_id_z 0
		.amdhsa_system_sgpr_workgroup_info 0
		.amdhsa_system_vgpr_workitem_id 0
		.amdhsa_next_free_vgpr 29
		.amdhsa_next_free_sgpr 55
		.amdhsa_reserve_vcc 1
		.amdhsa_reserve_flat_scratch 0
		.amdhsa_float_round_mode_32 0
		.amdhsa_float_round_mode_16_64 0
		.amdhsa_float_denorm_mode_32 3
		.amdhsa_float_denorm_mode_16_64 3
		.amdhsa_dx10_clamp 1
		.amdhsa_ieee_mode 1
		.amdhsa_fp16_overflow 0
		.amdhsa_exception_fp_ieee_invalid_op 0
		.amdhsa_exception_fp_denorm_src 0
		.amdhsa_exception_fp_ieee_div_zero 0
		.amdhsa_exception_fp_ieee_overflow 0
		.amdhsa_exception_fp_ieee_underflow 0
		.amdhsa_exception_fp_ieee_inexact 0
		.amdhsa_exception_int_div_zero 0
	.end_amdhsa_kernel
	.section	.text._ZN2at6native12_GLOBAL__N_139avg_pool2d_backward_out_cuda_frame_nhwcIN3c104HalfEfiEEvT1_PKT_llliiiiiiiiPS6_ibb,"axG",@progbits,_ZN2at6native12_GLOBAL__N_139avg_pool2d_backward_out_cuda_frame_nhwcIN3c104HalfEfiEEvT1_PKT_llliiiiiiiiPS6_ibb,comdat
.Lfunc_end16:
	.size	_ZN2at6native12_GLOBAL__N_139avg_pool2d_backward_out_cuda_frame_nhwcIN3c104HalfEfiEEvT1_PKT_llliiiiiiiiPS6_ibb, .Lfunc_end16-_ZN2at6native12_GLOBAL__N_139avg_pool2d_backward_out_cuda_frame_nhwcIN3c104HalfEfiEEvT1_PKT_llliiiiiiiiPS6_ibb
                                        ; -- End function
	.set _ZN2at6native12_GLOBAL__N_139avg_pool2d_backward_out_cuda_frame_nhwcIN3c104HalfEfiEEvT1_PKT_llliiiiiiiiPS6_ibb.num_vgpr, 29
	.set _ZN2at6native12_GLOBAL__N_139avg_pool2d_backward_out_cuda_frame_nhwcIN3c104HalfEfiEEvT1_PKT_llliiiiiiiiPS6_ibb.num_agpr, 0
	.set _ZN2at6native12_GLOBAL__N_139avg_pool2d_backward_out_cuda_frame_nhwcIN3c104HalfEfiEEvT1_PKT_llliiiiiiiiPS6_ibb.numbered_sgpr, 55
	.set _ZN2at6native12_GLOBAL__N_139avg_pool2d_backward_out_cuda_frame_nhwcIN3c104HalfEfiEEvT1_PKT_llliiiiiiiiPS6_ibb.num_named_barrier, 0
	.set _ZN2at6native12_GLOBAL__N_139avg_pool2d_backward_out_cuda_frame_nhwcIN3c104HalfEfiEEvT1_PKT_llliiiiiiiiPS6_ibb.private_seg_size, 0
	.set _ZN2at6native12_GLOBAL__N_139avg_pool2d_backward_out_cuda_frame_nhwcIN3c104HalfEfiEEvT1_PKT_llliiiiiiiiPS6_ibb.uses_vcc, 1
	.set _ZN2at6native12_GLOBAL__N_139avg_pool2d_backward_out_cuda_frame_nhwcIN3c104HalfEfiEEvT1_PKT_llliiiiiiiiPS6_ibb.uses_flat_scratch, 0
	.set _ZN2at6native12_GLOBAL__N_139avg_pool2d_backward_out_cuda_frame_nhwcIN3c104HalfEfiEEvT1_PKT_llliiiiiiiiPS6_ibb.has_dyn_sized_stack, 0
	.set _ZN2at6native12_GLOBAL__N_139avg_pool2d_backward_out_cuda_frame_nhwcIN3c104HalfEfiEEvT1_PKT_llliiiiiiiiPS6_ibb.has_recursion, 0
	.set _ZN2at6native12_GLOBAL__N_139avg_pool2d_backward_out_cuda_frame_nhwcIN3c104HalfEfiEEvT1_PKT_llliiiiiiiiPS6_ibb.has_indirect_call, 0
	.section	.AMDGPU.csdata,"",@progbits
; Kernel info:
; codeLenInByte = 3548
; TotalNumSgprs: 59
; NumVgprs: 29
; ScratchSize: 0
; MemoryBound: 0
; FloatMode: 240
; IeeeMode: 1
; LDSByteSize: 0 bytes/workgroup (compile time only)
; SGPRBlocks: 7
; VGPRBlocks: 7
; NumSGPRsForWavesPerEU: 59
; NumVGPRsForWavesPerEU: 29
; Occupancy: 8
; WaveLimiterHint : 0
; COMPUTE_PGM_RSRC2:SCRATCH_EN: 0
; COMPUTE_PGM_RSRC2:USER_SGPR: 6
; COMPUTE_PGM_RSRC2:TRAP_HANDLER: 0
; COMPUTE_PGM_RSRC2:TGID_X_EN: 1
; COMPUTE_PGM_RSRC2:TGID_Y_EN: 0
; COMPUTE_PGM_RSRC2:TGID_Z_EN: 0
; COMPUTE_PGM_RSRC2:TIDIG_COMP_CNT: 0
	.section	.text._ZN2at6native12_GLOBAL__N_134avg_pool2d_backward_out_cuda_frameIN3c104HalfEfiEEvT1_PKT_llllliiiiiiPS6_ibb,"axG",@progbits,_ZN2at6native12_GLOBAL__N_134avg_pool2d_backward_out_cuda_frameIN3c104HalfEfiEEvT1_PKT_llllliiiiiiPS6_ibb,comdat
	.globl	_ZN2at6native12_GLOBAL__N_134avg_pool2d_backward_out_cuda_frameIN3c104HalfEfiEEvT1_PKT_llllliiiiiiPS6_ibb ; -- Begin function _ZN2at6native12_GLOBAL__N_134avg_pool2d_backward_out_cuda_frameIN3c104HalfEfiEEvT1_PKT_llllliiiiiiPS6_ibb
	.p2align	8
	.type	_ZN2at6native12_GLOBAL__N_134avg_pool2d_backward_out_cuda_frameIN3c104HalfEfiEEvT1_PKT_llllliiiiiiPS6_ibb,@function
_ZN2at6native12_GLOBAL__N_134avg_pool2d_backward_out_cuda_frameIN3c104HalfEfiEEvT1_PKT_llllliiiiiiPS6_ibb: ; @_ZN2at6native12_GLOBAL__N_134avg_pool2d_backward_out_cuda_frameIN3c104HalfEfiEEvT1_PKT_llllliiiiiiPS6_ibb
; %bb.0:
	s_load_dword s24, s[4:5], 0x0
	s_load_dword s0, s[4:5], 0x6c
	v_mov_b32_e32 v2, 0
	v_mov_b32_e32 v1, v2
	;; [unrolled: 1-line block ×3, first 2 shown]
	s_waitcnt lgkmcnt(0)
	s_ashr_i32 s25, s24, 31
	s_add_u32 s30, s4, 0x60
	s_addc_u32 s31, s5, 0
	s_and_b32 s7, s0, 0xffff
	v_mad_u64_u32 v[0:1], s[0:1], s7, v3, v[0:1]
	v_cmp_gt_i64_e32 vcc, s[24:25], v[0:1]
	s_and_saveexec_b64 s[0:1], vcc
	s_cbranch_execz .LBB17_25
; %bb.1:
	s_load_dwordx2 s[26:27], s[4:5], 0x58
	s_load_dword s2, s[4:5], 0x5c
	s_load_dwordx8 s[8:15], s[4:5], 0x18
	s_load_dwordx8 s[16:23], s[4:5], 0x38
	s_load_dwordx2 s[28:29], s[4:5], 0x8
	s_waitcnt lgkmcnt(0)
	s_bitcmp1_b32 s27, 0
	s_cselect_b64 s[0:1], -1, 0
	s_bitcmp1_b32 s2, 8
	s_cselect_b64 s[2:3], -1, 0
	s_abs_i32 s27, s18
	v_cvt_f32_u32_e32 v3, s27
	s_abs_i32 s33, s19
	v_cvt_f32_u32_e32 v4, s33
	s_sub_i32 s5, 0, s27
	v_rcp_iflag_f32_e32 v3, v3
	s_load_dword s4, s[30:31], 0x0
	v_rcp_iflag_f32_e32 v4, v4
	s_add_i32 s48, s20, s8
	v_mul_f32_e32 v3, 0x4f7ffffe, v3
	v_cvt_u32_f32_e32 v3, v3
	v_mul_f32_e32 v4, 0x4f7ffffe, v4
	v_cvt_u32_f32_e32 v4, v4
	s_add_i32 s49, s21, s10
	v_mul_lo_u32 v5, s5, v3
	s_sub_i32 s5, 0, s33
	v_mul_lo_u32 v6, s5, v4
	s_waitcnt lgkmcnt(0)
	s_mul_i32 s50, s4, s7
	v_mul_hi_u32 v5, v3, v5
	s_ashr_i32 s51, s18, 31
	v_mul_hi_u32 v6, v4, v6
	s_ashr_i32 s52, s19, 31
	v_add_u32_e32 v10, v3, v5
	s_lshl_b64 s[30:31], s[12:13], 1
	v_add_u32_e32 v11, v4, v6
	s_lshl_b64 s[34:35], s[14:15], 1
	s_sub_i32 s13, 0, s21
	s_sub_i32 s53, s17, s21
	s_mov_b64 s[36:37], 0
	s_ashr_i32 s38, s11, 31
	s_branch .LBB17_4
.LBB17_2:                               ;   in Loop: Header=BB17_4 Depth=1
	s_or_b64 exec, exec, s[42:43]
	v_cvt_f16_f32_e32 v6, v14
.LBB17_3:                               ;   in Loop: Header=BB17_4 Depth=1
	s_or_b64 exec, exec, s[40:41]
	v_lshlrev_b64 v[3:4], 1, v[0:1]
	v_add_co_u32_e32 v0, vcc, s50, v0
	v_addc_co_u32_e32 v1, vcc, 0, v1, vcc
	v_cmp_le_i64_e32 vcc, s[24:25], v[0:1]
	v_mov_b32_e32 v5, s23
	v_add_co_u32_e64 v3, s[4:5], s22, v3
	v_addc_co_u32_e64 v4, s[4:5], v5, v4, s[4:5]
	s_or_b64 s[36:37], vcc, s[36:37]
	global_store_short v[3:4], v6, off
	s_andn2_b64 exec, exec, s[36:37]
	s_cbranch_execz .LBB17_25
.LBB17_4:                               ; =>This Loop Header: Depth=1
                                        ;     Child Loop BB17_20 Depth 2
                                        ;       Child Loop BB17_23 Depth 3
	v_or_b32_e32 v3, s11, v1
	v_cmp_ne_u64_e32 vcc, 0, v[2:3]
                                        ; implicit-def: $vgpr4_vgpr5
	s_and_saveexec_b64 s[4:5], vcc
	s_xor_b64 s[6:7], exec, s[4:5]
	s_cbranch_execz .LBB17_6
; %bb.5:                                ;   in Loop: Header=BB17_4 Depth=1
	s_add_u32 s4, s10, s38
	s_mov_b32 s39, s38
	s_addc_u32 s5, s11, s38
	s_xor_b64 s[40:41], s[4:5], s[38:39]
	v_cvt_f32_u32_e32 v3, s40
	v_cvt_f32_u32_e32 v4, s41
	s_sub_u32 s39, 0, s40
	s_subb_u32 s42, 0, s41
	v_ashrrev_i32_e32 v7, 31, v1
	v_mac_f32_e32 v3, 0x4f800000, v4
	v_rcp_f32_e32 v3, v3
	v_mul_f32_e32 v3, 0x5f7ffffc, v3
	v_mul_f32_e32 v4, 0x2f800000, v3
	v_trunc_f32_e32 v4, v4
	v_mac_f32_e32 v3, 0xcf800000, v4
	v_cvt_u32_f32_e32 v4, v4
	v_cvt_u32_f32_e32 v3, v3
	v_readfirstlane_b32 s43, v4
	v_readfirstlane_b32 s4, v3
	s_mul_i32 s5, s39, s43
	s_mul_hi_u32 s45, s39, s4
	s_mul_i32 s44, s42, s4
	s_add_i32 s5, s45, s5
	s_add_i32 s5, s5, s44
	s_mul_i32 s46, s39, s4
	s_mul_i32 s45, s4, s5
	s_mul_hi_u32 s47, s4, s46
	s_mul_hi_u32 s44, s4, s5
	s_add_u32 s45, s47, s45
	s_addc_u32 s44, 0, s44
	s_mul_hi_u32 s54, s43, s46
	s_mul_i32 s46, s43, s46
	s_add_u32 s45, s45, s46
	s_mul_hi_u32 s47, s43, s5
	s_addc_u32 s44, s44, s54
	s_addc_u32 s45, s47, 0
	s_mul_i32 s5, s43, s5
	s_add_u32 s5, s44, s5
	s_addc_u32 s44, 0, s45
	s_add_u32 s45, s4, s5
	s_cselect_b64 s[4:5], -1, 0
	s_cmp_lg_u64 s[4:5], 0
	s_addc_u32 s43, s43, s44
	s_mul_i32 s4, s39, s43
	s_mul_hi_u32 s5, s39, s45
	s_add_i32 s4, s5, s4
	s_mul_i32 s42, s42, s45
	s_add_i32 s4, s4, s42
	s_mul_i32 s39, s39, s45
	s_mul_hi_u32 s42, s43, s39
	s_mul_i32 s44, s43, s39
	s_mul_i32 s47, s45, s4
	s_mul_hi_u32 s39, s45, s39
	s_mul_hi_u32 s46, s45, s4
	s_add_u32 s39, s39, s47
	s_addc_u32 s46, 0, s46
	s_add_u32 s39, s39, s44
	s_mul_hi_u32 s5, s43, s4
	s_addc_u32 s39, s46, s42
	s_addc_u32 s5, s5, 0
	s_mul_i32 s4, s43, s4
	s_add_u32 s4, s39, s4
	s_addc_u32 s39, 0, s5
	s_add_u32 s42, s45, s4
	s_cselect_b64 s[4:5], -1, 0
	s_cmp_lg_u64 s[4:5], 0
	v_add_co_u32_e32 v3, vcc, v0, v7
	s_addc_u32 s39, s43, s39
	v_xor_b32_e32 v8, v3, v7
	v_mad_u64_u32 v[3:4], s[4:5], v8, s39, 0
	v_mul_hi_u32 v6, v8, s42
	v_addc_co_u32_e32 v5, vcc, v1, v7, vcc
	v_xor_b32_e32 v9, v5, v7
	v_add_co_u32_e32 v12, vcc, v6, v3
	v_addc_co_u32_e32 v13, vcc, 0, v4, vcc
	v_mad_u64_u32 v[3:4], s[4:5], v9, s42, 0
	v_mad_u64_u32 v[5:6], s[4:5], v9, s39, 0
	v_add_co_u32_e32 v3, vcc, v12, v3
	v_addc_co_u32_e32 v3, vcc, v13, v4, vcc
	v_addc_co_u32_e32 v4, vcc, 0, v6, vcc
	v_add_co_u32_e32 v5, vcc, v3, v5
	v_addc_co_u32_e32 v6, vcc, 0, v4, vcc
	v_mul_lo_u32 v12, s41, v5
	v_mul_lo_u32 v13, s40, v6
	v_mad_u64_u32 v[3:4], s[4:5], s40, v5, 0
	v_add3_u32 v4, v4, v13, v12
	v_sub_u32_e32 v12, v9, v4
	v_mov_b32_e32 v13, s41
	v_sub_co_u32_e32 v3, vcc, v8, v3
	v_subb_co_u32_e64 v8, s[4:5], v12, v13, vcc
	v_subrev_co_u32_e64 v12, s[4:5], s40, v3
	v_subbrev_co_u32_e64 v8, s[4:5], 0, v8, s[4:5]
	v_cmp_le_u32_e64 s[4:5], s41, v8
	v_cndmask_b32_e64 v13, 0, -1, s[4:5]
	v_cmp_le_u32_e64 s[4:5], s40, v12
	v_cndmask_b32_e64 v12, 0, -1, s[4:5]
	v_cmp_eq_u32_e64 s[4:5], s41, v8
	v_cndmask_b32_e64 v8, v13, v12, s[4:5]
	v_add_co_u32_e64 v12, s[4:5], 2, v5
	v_subb_co_u32_e32 v4, vcc, v9, v4, vcc
	v_addc_co_u32_e64 v13, s[4:5], 0, v6, s[4:5]
	v_cmp_le_u32_e32 vcc, s41, v4
	v_add_co_u32_e64 v14, s[4:5], 1, v5
	v_cndmask_b32_e64 v9, 0, -1, vcc
	v_cmp_le_u32_e32 vcc, s40, v3
	v_addc_co_u32_e64 v15, s[4:5], 0, v6, s[4:5]
	v_cndmask_b32_e64 v3, 0, -1, vcc
	v_cmp_eq_u32_e32 vcc, s41, v4
	v_cmp_ne_u32_e64 s[4:5], 0, v8
	v_cndmask_b32_e32 v3, v9, v3, vcc
	v_cmp_ne_u32_e32 vcc, 0, v3
	v_cndmask_b32_e64 v4, v14, v12, s[4:5]
	v_cndmask_b32_e64 v8, v15, v13, s[4:5]
	v_cndmask_b32_e32 v4, v5, v4, vcc
	v_xor_b32_e32 v5, s38, v7
	v_cndmask_b32_e32 v3, v6, v8, vcc
	v_xor_b32_e32 v4, v4, v5
	v_xor_b32_e32 v3, v3, v5
	v_sub_co_u32_e32 v4, vcc, v4, v5
	v_subb_co_u32_e32 v5, vcc, v3, v5, vcc
.LBB17_6:                               ;   in Loop: Header=BB17_4 Depth=1
	s_andn2_saveexec_b64 s[4:5], s[6:7]
	s_cbranch_execz .LBB17_8
; %bb.7:                                ;   in Loop: Header=BB17_4 Depth=1
	v_cvt_f32_u32_e32 v3, s10
	s_sub_i32 s6, 0, s10
	v_rcp_iflag_f32_e32 v3, v3
	v_mul_f32_e32 v3, 0x4f7ffffe, v3
	v_cvt_u32_f32_e32 v3, v3
	v_mul_lo_u32 v4, s6, v3
	v_mul_hi_u32 v4, v3, v4
	v_add_u32_e32 v3, v3, v4
	v_mul_hi_u32 v3, v0, v3
	v_mul_lo_u32 v4, v3, s10
	v_add_u32_e32 v5, 1, v3
	v_sub_u32_e32 v4, v0, v4
	v_subrev_u32_e32 v6, s10, v4
	v_cmp_le_u32_e32 vcc, s10, v4
	v_cndmask_b32_e32 v4, v4, v6, vcc
	v_cndmask_b32_e32 v3, v3, v5, vcc
	v_add_u32_e32 v5, 1, v3
	v_cmp_le_u32_e32 vcc, s10, v4
	v_cndmask_b32_e32 v4, v3, v5, vcc
	v_mov_b32_e32 v5, v2
.LBB17_8:                               ;   in Loop: Header=BB17_4 Depth=1
	s_or_b64 exec, exec, s[4:5]
	v_or_b32_e32 v3, s9, v5
	v_cmp_ne_u64_e32 vcc, 0, v[2:3]
                                        ; implicit-def: $vgpr7_vgpr8
	s_and_saveexec_b64 s[4:5], vcc
	s_xor_b64 s[6:7], exec, s[4:5]
	s_cbranch_execz .LBB17_10
; %bb.9:                                ;   in Loop: Header=BB17_4 Depth=1
	s_ashr_i32 s40, s9, 31
	s_add_u32 s4, s8, s40
	s_mov_b32 s41, s40
	s_addc_u32 s5, s9, s40
	s_xor_b64 s[42:43], s[4:5], s[40:41]
	v_cvt_f32_u32_e32 v3, s42
	v_cvt_f32_u32_e32 v6, s43
	s_sub_u32 s39, 0, s42
	s_subb_u32 s41, 0, s43
	v_mac_f32_e32 v3, 0x4f800000, v6
	v_rcp_f32_e32 v3, v3
	v_mul_f32_e32 v3, 0x5f7ffffc, v3
	v_mul_f32_e32 v6, 0x2f800000, v3
	v_trunc_f32_e32 v6, v6
	v_mac_f32_e32 v3, 0xcf800000, v6
	v_cvt_u32_f32_e32 v6, v6
	v_cvt_u32_f32_e32 v3, v3
	v_readfirstlane_b32 s44, v6
	v_readfirstlane_b32 s4, v3
	s_mul_i32 s5, s39, s44
	s_mul_hi_u32 s46, s39, s4
	s_mul_i32 s45, s41, s4
	s_add_i32 s5, s46, s5
	s_add_i32 s5, s5, s45
	s_mul_i32 s47, s39, s4
	s_mul_i32 s46, s4, s5
	s_mul_hi_u32 s54, s4, s47
	s_mul_hi_u32 s45, s4, s5
	s_add_u32 s46, s54, s46
	s_addc_u32 s45, 0, s45
	s_mul_hi_u32 s55, s44, s47
	s_mul_i32 s47, s44, s47
	s_add_u32 s46, s46, s47
	s_mul_hi_u32 s54, s44, s5
	s_addc_u32 s45, s45, s55
	s_addc_u32 s46, s54, 0
	s_mul_i32 s5, s44, s5
	s_add_u32 s5, s45, s5
	s_addc_u32 s45, 0, s46
	s_add_u32 s46, s4, s5
	s_cselect_b64 s[4:5], -1, 0
	s_cmp_lg_u64 s[4:5], 0
	s_addc_u32 s44, s44, s45
	s_mul_i32 s4, s39, s44
	s_mul_hi_u32 s5, s39, s46
	s_add_i32 s4, s5, s4
	s_mul_i32 s41, s41, s46
	s_add_i32 s4, s4, s41
	s_mul_i32 s39, s39, s46
	s_mul_hi_u32 s41, s44, s39
	s_mul_i32 s45, s44, s39
	s_mul_i32 s54, s46, s4
	s_mul_hi_u32 s39, s46, s39
	s_mul_hi_u32 s47, s46, s4
	s_add_u32 s39, s39, s54
	s_addc_u32 s47, 0, s47
	s_add_u32 s39, s39, s45
	s_mul_hi_u32 s5, s44, s4
	s_addc_u32 s39, s47, s41
	s_addc_u32 s5, s5, 0
	s_mul_i32 s4, s44, s4
	s_add_u32 s4, s39, s4
	s_addc_u32 s39, 0, s5
	s_add_u32 s41, s46, s4
	s_cselect_b64 s[4:5], -1, 0
	v_ashrrev_i32_e32 v3, 31, v5
	s_cmp_lg_u64 s[4:5], 0
	v_add_co_u32_e32 v6, vcc, v4, v3
	s_addc_u32 s39, s44, s39
	v_xor_b32_e32 v9, v6, v3
	v_addc_co_u32_e32 v7, vcc, v5, v3, vcc
	v_mad_u64_u32 v[5:6], s[4:5], v9, s39, 0
	v_mul_hi_u32 v8, v9, s41
	v_xor_b32_e32 v12, v7, v3
	v_xor_b32_e32 v3, s40, v3
	v_add_co_u32_e32 v13, vcc, v8, v5
	v_addc_co_u32_e32 v14, vcc, 0, v6, vcc
	v_mad_u64_u32 v[5:6], s[4:5], v12, s41, 0
	v_mad_u64_u32 v[7:8], s[4:5], v12, s39, 0
	v_add_co_u32_e32 v5, vcc, v13, v5
	v_addc_co_u32_e32 v5, vcc, v14, v6, vcc
	v_addc_co_u32_e32 v6, vcc, 0, v8, vcc
	v_add_co_u32_e32 v7, vcc, v5, v7
	v_addc_co_u32_e32 v8, vcc, 0, v6, vcc
	v_mul_lo_u32 v13, s43, v7
	v_mul_lo_u32 v14, s42, v8
	v_mad_u64_u32 v[5:6], s[4:5], s42, v7, 0
	v_add3_u32 v6, v6, v14, v13
	v_sub_u32_e32 v13, v12, v6
	v_mov_b32_e32 v14, s43
	v_sub_co_u32_e32 v5, vcc, v9, v5
	v_subb_co_u32_e64 v9, s[4:5], v13, v14, vcc
	v_subrev_co_u32_e64 v13, s[4:5], s42, v5
	v_subbrev_co_u32_e64 v9, s[4:5], 0, v9, s[4:5]
	v_cmp_le_u32_e64 s[4:5], s43, v9
	v_cndmask_b32_e64 v14, 0, -1, s[4:5]
	v_cmp_le_u32_e64 s[4:5], s42, v13
	v_cndmask_b32_e64 v13, 0, -1, s[4:5]
	v_cmp_eq_u32_e64 s[4:5], s43, v9
	v_cndmask_b32_e64 v9, v14, v13, s[4:5]
	v_add_co_u32_e64 v13, s[4:5], 2, v7
	v_subb_co_u32_e32 v6, vcc, v12, v6, vcc
	v_addc_co_u32_e64 v14, s[4:5], 0, v8, s[4:5]
	v_cmp_le_u32_e32 vcc, s43, v6
	v_add_co_u32_e64 v15, s[4:5], 1, v7
	v_cndmask_b32_e64 v12, 0, -1, vcc
	v_cmp_le_u32_e32 vcc, s42, v5
	v_addc_co_u32_e64 v16, s[4:5], 0, v8, s[4:5]
	v_cndmask_b32_e64 v5, 0, -1, vcc
	v_cmp_eq_u32_e32 vcc, s43, v6
	v_cmp_ne_u32_e64 s[4:5], 0, v9
	v_cndmask_b32_e32 v5, v12, v5, vcc
	v_cmp_ne_u32_e32 vcc, 0, v5
	v_cndmask_b32_e64 v6, v15, v13, s[4:5]
	v_cndmask_b32_e64 v9, v16, v14, s[4:5]
	v_cndmask_b32_e32 v6, v7, v6, vcc
	v_cndmask_b32_e32 v5, v8, v9, vcc
	v_xor_b32_e32 v6, v6, v3
	v_xor_b32_e32 v5, v5, v3
	v_sub_co_u32_e32 v7, vcc, v6, v3
	v_subb_co_u32_e32 v8, vcc, v5, v3, vcc
.LBB17_10:                              ;   in Loop: Header=BB17_4 Depth=1
	s_andn2_saveexec_b64 s[4:5], s[6:7]
	s_cbranch_execz .LBB17_12
; %bb.11:                               ;   in Loop: Header=BB17_4 Depth=1
	v_cvt_f32_u32_e32 v3, s8
	s_sub_i32 s6, 0, s8
	v_mov_b32_e32 v8, v2
	v_rcp_iflag_f32_e32 v3, v3
	v_mul_f32_e32 v3, 0x4f7ffffe, v3
	v_cvt_u32_f32_e32 v3, v3
	v_mul_lo_u32 v5, s6, v3
	v_mul_hi_u32 v5, v3, v5
	v_add_u32_e32 v3, v3, v5
	v_mul_hi_u32 v3, v4, v3
	v_mul_lo_u32 v5, v3, s8
	v_add_u32_e32 v6, 1, v3
	v_sub_u32_e32 v5, v4, v5
	v_subrev_u32_e32 v7, s8, v5
	v_cmp_le_u32_e32 vcc, s8, v5
	v_cndmask_b32_e32 v5, v5, v7, vcc
	v_cndmask_b32_e32 v3, v3, v6, vcc
	v_add_u32_e32 v6, 1, v3
	v_cmp_le_u32_e32 vcc, s8, v5
	v_cndmask_b32_e32 v7, v3, v6, vcc
.LBB17_12:                              ;   in Loop: Header=BB17_4 Depth=1
	s_or_b64 exec, exec, s[4:5]
	v_mul_lo_u32 v5, v7, s8
	v_mov_b32_e32 v3, 0
	v_sub_u32_e32 v5, v4, v5
	v_add_u32_e32 v6, s20, v5
	v_cmp_le_i32_e32 vcc, s16, v6
	v_mov_b32_e32 v5, 0
	s_and_saveexec_b64 s[4:5], vcc
	s_cbranch_execz .LBB17_14
; %bb.13:                               ;   in Loop: Header=BB17_4 Depth=1
	v_subrev_u32_e32 v5, s16, v6
	v_mul_hi_u32 v9, v5, v10
	v_mul_lo_u32 v12, v9, s27
	v_add_u32_e32 v13, 1, v9
	v_sub_u32_e32 v5, v5, v12
	v_cmp_le_u32_e32 vcc, s27, v5
	v_subrev_u32_e32 v12, s27, v5
	v_cndmask_b32_e32 v9, v9, v13, vcc
	v_cndmask_b32_e32 v5, v5, v12, vcc
	v_add_u32_e32 v12, 1, v9
	v_cmp_le_u32_e32 vcc, s27, v5
	v_cndmask_b32_e32 v5, v9, v12, vcc
	v_xor_b32_e32 v5, s51, v5
	v_subrev_u32_e32 v5, s51, v5
	v_add_u32_e32 v5, 1, v5
.LBB17_14:                              ;   in Loop: Header=BB17_4 Depth=1
	s_or_b64 exec, exec, s[4:5]
	v_mul_lo_u32 v4, v4, s10
	v_sub_u32_e32 v4, v0, v4
	v_add_u32_e32 v4, s21, v4
	v_cmp_le_i32_e32 vcc, s17, v4
	s_and_saveexec_b64 s[4:5], vcc
	s_cbranch_execz .LBB17_16
; %bb.15:                               ;   in Loop: Header=BB17_4 Depth=1
	v_subrev_u32_e32 v3, s17, v4
	v_mul_hi_u32 v9, v3, v11
	v_mul_lo_u32 v12, v9, s33
	v_add_u32_e32 v13, 1, v9
	v_sub_u32_e32 v3, v3, v12
	v_cmp_le_u32_e32 vcc, s33, v3
	v_subrev_u32_e32 v12, s33, v3
	v_cndmask_b32_e32 v9, v9, v13, vcc
	v_cndmask_b32_e32 v3, v3, v12, vcc
	v_add_u32_e32 v12, 1, v9
	v_cmp_le_u32_e32 vcc, s33, v3
	v_cndmask_b32_e32 v3, v9, v12, vcc
	v_xor_b32_e32 v3, s52, v3
	v_subrev_u32_e32 v3, s52, v3
	v_add_u32_e32 v3, 1, v3
.LBB17_16:                              ;   in Loop: Header=BB17_4 Depth=1
	s_or_b64 exec, exec, s[4:5]
	v_sub_u32_e32 v9, 0, v6
	v_max_i32_e32 v9, v6, v9
	v_mul_hi_u32 v12, v9, v10
	v_ashrrev_i32_e32 v6, 31, v6
	v_xor_b32_e32 v6, s51, v6
	v_mul_lo_u32 v13, v12, s27
	v_add_u32_e32 v14, 1, v12
	v_sub_u32_e32 v9, v9, v13
	v_cmp_le_u32_e32 vcc, s27, v9
	v_subrev_u32_e32 v13, s27, v9
	v_cndmask_b32_e32 v12, v12, v14, vcc
	v_cndmask_b32_e32 v9, v9, v13, vcc
	v_add_u32_e32 v13, 1, v12
	v_cmp_le_u32_e32 vcc, s27, v9
	v_cndmask_b32_e32 v9, v12, v13, vcc
	v_xor_b32_e32 v9, v9, v6
	v_sub_u32_e32 v6, v9, v6
	v_add_u32_e32 v6, 1, v6
	v_min_i32_e32 v12, s12, v6
	v_cmp_lt_i32_e32 vcc, v5, v12
	v_mov_b32_e32 v6, 0
	s_and_saveexec_b64 s[40:41], vcc
	s_cbranch_execz .LBB17_3
; %bb.17:                               ;   in Loop: Header=BB17_4 Depth=1
	v_sub_u32_e32 v6, 0, v4
	v_max_i32_e32 v6, v4, v6
	v_mul_hi_u32 v9, v6, v11
	v_ashrrev_i32_e32 v4, 31, v4
	v_mul_lo_u32 v8, s30, v8
	v_mul_lo_u32 v17, s31, v7
	;; [unrolled: 1-line block ×3, first 2 shown]
	v_add_u32_e32 v14, 1, v9
	v_xor_b32_e32 v4, s52, v4
	s_mov_b64 s[42:43], 0
	v_sub_u32_e32 v6, v6, v13
	v_cmp_le_u32_e32 vcc, s33, v6
	v_subrev_u32_e32 v13, s33, v6
	v_cndmask_b32_e32 v15, v6, v13, vcc
	v_ashrrev_i32_e32 v6, 31, v5
	v_cndmask_b32_e32 v9, v9, v14, vcc
	v_lshlrev_b64 v[13:14], 1, v[5:6]
	v_add_u32_e32 v16, 1, v9
	v_mad_u64_u32 v[6:7], s[4:5], s30, v7, v[13:14]
	v_cmp_le_u32_e32 vcc, s33, v15
	v_cndmask_b32_e32 v9, v9, v16, vcc
	v_xor_b32_e32 v9, v9, v4
	v_sub_u32_e32 v9, v9, v4
	v_ashrrev_i32_e32 v4, 31, v3
	v_add3_u32 v13, v17, v7, v8
	v_lshlrev_b64 v[7:8], 1, v[3:4]
	v_mul_lo_u32 v13, s14, v13
	v_mad_u64_u32 v[7:8], s[4:5], s14, v6, v[7:8]
	v_mul_lo_u32 v6, s15, v6
	v_mul_lo_u32 v14, s19, v3
	v_add_u32_e32 v4, 1, v9
	v_min_i32_e32 v4, s14, v4
	v_add3_u32 v8, v6, v8, v13
	v_mov_b32_e32 v9, s29
	v_add_co_u32_e64 v6, s[4:5], s28, v7
	v_cmp_lt_i32_e32 vcc, v3, v4
	v_addc_co_u32_e64 v7, s[4:5], v9, v8, s[4:5]
	v_add_u32_e32 v13, s13, v14
	v_add_u32_e32 v15, s53, v14
	v_sub_u32_e32 v16, s21, v14
	v_mov_b32_e32 v14, 0
	s_branch .LBB17_20
.LBB17_18:                              ;   in Loop: Header=BB17_20 Depth=2
	s_or_b64 exec, exec, s[46:47]
.LBB17_19:                              ;   in Loop: Header=BB17_20 Depth=2
	s_or_b64 exec, exec, s[44:45]
	v_add_u32_e32 v5, 1, v5
	v_cmp_ge_i32_e64 s[4:5], v5, v12
	v_mov_b32_e32 v8, s35
	s_or_b64 s[42:43], s[4:5], s[42:43]
	v_add_co_u32_e64 v6, s[4:5], s34, v6
	v_addc_co_u32_e64 v7, s[4:5], v7, v8, s[4:5]
	s_andn2_b64 exec, exec, s[42:43]
	s_cbranch_execz .LBB17_2
.LBB17_20:                              ;   Parent Loop BB17_4 Depth=1
                                        ; =>  This Loop Header: Depth=2
                                        ;       Child Loop BB17_23 Depth 3
	s_and_saveexec_b64 s[44:45], vcc
	s_cbranch_execz .LBB17_19
; %bb.21:                               ;   in Loop: Header=BB17_20 Depth=2
	v_mul_lo_u32 v8, v5, s18
	s_mov_b64 s[46:47], 0
	v_mov_b32_e32 v20, v15
	v_mov_b32_e32 v21, v13
	v_subrev_u32_e32 v8, s20, v8
	v_add_u32_e32 v9, s16, v8
	v_min_i32_e32 v9, s48, v9
	v_max_i32_e32 v18, 0, v8
	v_min_i32_e32 v19, s8, v9
	v_sub_u32_e32 v17, v9, v8
	v_mov_b32_e32 v9, v7
	v_cmp_gt_i32_e64 s[4:5], v19, v18
	v_sub_u32_e32 v18, v19, v18
	v_mov_b32_e32 v19, v16
	v_mov_b32_e32 v8, v6
	;; [unrolled: 1-line block ×3, first 2 shown]
	s_branch .LBB17_23
.LBB17_22:                              ;   in Loop: Header=BB17_23 Depth=3
	s_or_b64 exec, exec, s[6:7]
	v_add_co_u32_e64 v8, s[6:7], 2, v8
	v_add_u32_e32 v22, 1, v22
	v_addc_co_u32_e64 v9, s[6:7], 0, v9, s[6:7]
	v_cmp_ge_i32_e64 s[6:7], v22, v4
	v_add_u32_e32 v21, s19, v21
	v_add_u32_e32 v20, s19, v20
	s_or_b64 s[46:47], s[6:7], s[46:47]
	v_subrev_u32_e32 v19, s19, v19
	s_andn2_b64 exec, exec, s[46:47]
	s_cbranch_execz .LBB17_18
.LBB17_23:                              ;   Parent Loop BB17_4 Depth=1
                                        ;     Parent Loop BB17_20 Depth=2
                                        ; =>    This Inner Loop Header: Depth=3
	v_add_u32_e32 v24, s17, v21
	v_mov_b32_e32 v25, s10
	v_max_i32_e32 v23, 0, v21
	v_min3_i32 v24, v24, s49, v25
	v_cmp_gt_i32_e64 s[6:7], v24, v23
	s_and_b64 s[54:55], s[4:5], s[6:7]
	s_and_saveexec_b64 s[6:7], s[54:55]
	s_cbranch_execz .LBB17_22
; %bb.24:                               ;   in Loop: Header=BB17_23 Depth=3
	global_load_ushort v25, v[8:9], off
	v_min_i32_e32 v26, s49, v20
	v_add_u32_e32 v26, v26, v19
	v_sub_u32_e32 v23, v24, v23
	v_mul_lo_u32 v26, v26, v17
	v_mul_lo_u32 v23, v23, v18
	v_mov_b32_e32 v24, s26
	v_cndmask_b32_e64 v23, v23, v26, s[0:1]
	v_cndmask_b32_e64 v23, v23, v24, s[2:3]
	v_cvt_f32_i32_e32 v23, v23
	v_cvt_f16_f32_e32 v23, v23
	v_cvt_f32_f16_e32 v24, v23
	v_rcp_f32_e32 v26, v24
	s_waitcnt vmcnt(0)
	v_cvt_f32_f16_e32 v27, v25
	v_mul_f32_e32 v28, v27, v26
	v_mad_f32 v29, -v24, v28, v27
	v_mac_f32_e32 v28, v29, v26
	v_mad_f32 v24, -v24, v28, v27
	v_mul_f32_e32 v24, v24, v26
	v_and_b32_e32 v24, 0xff800000, v24
	v_add_f32_e32 v24, v24, v28
	v_cvt_f16_f32_e32 v24, v24
	v_div_fixup_f16 v23, v24, v23, v25
	v_cvt_f32_f16_e32 v23, v23
	v_add_f32_e32 v14, v14, v23
	s_branch .LBB17_22
.LBB17_25:
	s_endpgm
	.section	.rodata,"a",@progbits
	.p2align	6, 0x0
	.amdhsa_kernel _ZN2at6native12_GLOBAL__N_134avg_pool2d_backward_out_cuda_frameIN3c104HalfEfiEEvT1_PKT_llllliiiiiiPS6_ibb
		.amdhsa_group_segment_fixed_size 0
		.amdhsa_private_segment_fixed_size 0
		.amdhsa_kernarg_size 352
		.amdhsa_user_sgpr_count 6
		.amdhsa_user_sgpr_private_segment_buffer 1
		.amdhsa_user_sgpr_dispatch_ptr 0
		.amdhsa_user_sgpr_queue_ptr 0
		.amdhsa_user_sgpr_kernarg_segment_ptr 1
		.amdhsa_user_sgpr_dispatch_id 0
		.amdhsa_user_sgpr_flat_scratch_init 0
		.amdhsa_user_sgpr_private_segment_size 0
		.amdhsa_uses_dynamic_stack 0
		.amdhsa_system_sgpr_private_segment_wavefront_offset 0
		.amdhsa_system_sgpr_workgroup_id_x 1
		.amdhsa_system_sgpr_workgroup_id_y 0
		.amdhsa_system_sgpr_workgroup_id_z 0
		.amdhsa_system_sgpr_workgroup_info 0
		.amdhsa_system_vgpr_workitem_id 0
		.amdhsa_next_free_vgpr 30
		.amdhsa_next_free_sgpr 56
		.amdhsa_reserve_vcc 1
		.amdhsa_reserve_flat_scratch 0
		.amdhsa_float_round_mode_32 0
		.amdhsa_float_round_mode_16_64 0
		.amdhsa_float_denorm_mode_32 3
		.amdhsa_float_denorm_mode_16_64 3
		.amdhsa_dx10_clamp 1
		.amdhsa_ieee_mode 1
		.amdhsa_fp16_overflow 0
		.amdhsa_exception_fp_ieee_invalid_op 0
		.amdhsa_exception_fp_denorm_src 0
		.amdhsa_exception_fp_ieee_div_zero 0
		.amdhsa_exception_fp_ieee_overflow 0
		.amdhsa_exception_fp_ieee_underflow 0
		.amdhsa_exception_fp_ieee_inexact 0
		.amdhsa_exception_int_div_zero 0
	.end_amdhsa_kernel
	.section	.text._ZN2at6native12_GLOBAL__N_134avg_pool2d_backward_out_cuda_frameIN3c104HalfEfiEEvT1_PKT_llllliiiiiiPS6_ibb,"axG",@progbits,_ZN2at6native12_GLOBAL__N_134avg_pool2d_backward_out_cuda_frameIN3c104HalfEfiEEvT1_PKT_llllliiiiiiPS6_ibb,comdat
.Lfunc_end17:
	.size	_ZN2at6native12_GLOBAL__N_134avg_pool2d_backward_out_cuda_frameIN3c104HalfEfiEEvT1_PKT_llllliiiiiiPS6_ibb, .Lfunc_end17-_ZN2at6native12_GLOBAL__N_134avg_pool2d_backward_out_cuda_frameIN3c104HalfEfiEEvT1_PKT_llllliiiiiiPS6_ibb
                                        ; -- End function
	.set _ZN2at6native12_GLOBAL__N_134avg_pool2d_backward_out_cuda_frameIN3c104HalfEfiEEvT1_PKT_llllliiiiiiPS6_ibb.num_vgpr, 30
	.set _ZN2at6native12_GLOBAL__N_134avg_pool2d_backward_out_cuda_frameIN3c104HalfEfiEEvT1_PKT_llllliiiiiiPS6_ibb.num_agpr, 0
	.set _ZN2at6native12_GLOBAL__N_134avg_pool2d_backward_out_cuda_frameIN3c104HalfEfiEEvT1_PKT_llllliiiiiiPS6_ibb.numbered_sgpr, 56
	.set _ZN2at6native12_GLOBAL__N_134avg_pool2d_backward_out_cuda_frameIN3c104HalfEfiEEvT1_PKT_llllliiiiiiPS6_ibb.num_named_barrier, 0
	.set _ZN2at6native12_GLOBAL__N_134avg_pool2d_backward_out_cuda_frameIN3c104HalfEfiEEvT1_PKT_llllliiiiiiPS6_ibb.private_seg_size, 0
	.set _ZN2at6native12_GLOBAL__N_134avg_pool2d_backward_out_cuda_frameIN3c104HalfEfiEEvT1_PKT_llllliiiiiiPS6_ibb.uses_vcc, 1
	.set _ZN2at6native12_GLOBAL__N_134avg_pool2d_backward_out_cuda_frameIN3c104HalfEfiEEvT1_PKT_llllliiiiiiPS6_ibb.uses_flat_scratch, 0
	.set _ZN2at6native12_GLOBAL__N_134avg_pool2d_backward_out_cuda_frameIN3c104HalfEfiEEvT1_PKT_llllliiiiiiPS6_ibb.has_dyn_sized_stack, 0
	.set _ZN2at6native12_GLOBAL__N_134avg_pool2d_backward_out_cuda_frameIN3c104HalfEfiEEvT1_PKT_llllliiiiiiPS6_ibb.has_recursion, 0
	.set _ZN2at6native12_GLOBAL__N_134avg_pool2d_backward_out_cuda_frameIN3c104HalfEfiEEvT1_PKT_llllliiiiiiPS6_ibb.has_indirect_call, 0
	.section	.AMDGPU.csdata,"",@progbits
; Kernel info:
; codeLenInByte = 2748
; TotalNumSgprs: 60
; NumVgprs: 30
; ScratchSize: 0
; MemoryBound: 0
; FloatMode: 240
; IeeeMode: 1
; LDSByteSize: 0 bytes/workgroup (compile time only)
; SGPRBlocks: 7
; VGPRBlocks: 7
; NumSGPRsForWavesPerEU: 60
; NumVGPRsForWavesPerEU: 30
; Occupancy: 8
; WaveLimiterHint : 0
; COMPUTE_PGM_RSRC2:SCRATCH_EN: 0
; COMPUTE_PGM_RSRC2:USER_SGPR: 6
; COMPUTE_PGM_RSRC2:TRAP_HANDLER: 0
; COMPUTE_PGM_RSRC2:TGID_X_EN: 1
; COMPUTE_PGM_RSRC2:TGID_Y_EN: 0
; COMPUTE_PGM_RSRC2:TGID_Z_EN: 0
; COMPUTE_PGM_RSRC2:TIDIG_COMP_CNT: 0
	.section	.text._ZN2at6native12_GLOBAL__N_139avg_pool2d_backward_out_cuda_frame_nhwcIN3c104HalfEflEEvT1_PKT_llliiiiiiiiPS6_ibb,"axG",@progbits,_ZN2at6native12_GLOBAL__N_139avg_pool2d_backward_out_cuda_frame_nhwcIN3c104HalfEflEEvT1_PKT_llliiiiiiiiPS6_ibb,comdat
	.globl	_ZN2at6native12_GLOBAL__N_139avg_pool2d_backward_out_cuda_frame_nhwcIN3c104HalfEflEEvT1_PKT_llliiiiiiiiPS6_ibb ; -- Begin function _ZN2at6native12_GLOBAL__N_139avg_pool2d_backward_out_cuda_frame_nhwcIN3c104HalfEflEEvT1_PKT_llliiiiiiiiPS6_ibb
	.p2align	8
	.type	_ZN2at6native12_GLOBAL__N_139avg_pool2d_backward_out_cuda_frame_nhwcIN3c104HalfEflEEvT1_PKT_llliiiiiiiiPS6_ibb,@function
_ZN2at6native12_GLOBAL__N_139avg_pool2d_backward_out_cuda_frame_nhwcIN3c104HalfEflEEvT1_PKT_llliiiiiiiiPS6_ibb: ; @_ZN2at6native12_GLOBAL__N_139avg_pool2d_backward_out_cuda_frame_nhwcIN3c104HalfEflEEvT1_PKT_llliiiiiiiiPS6_ibb
; %bb.0:
	s_load_dword s0, s[4:5], 0x64
	s_load_dwordx8 s[8:15], s[4:5], 0x0
	s_add_u32 s30, s4, 0x58
	v_mov_b32_e32 v2, 0
	s_addc_u32 s31, s5, 0
	s_waitcnt lgkmcnt(0)
	s_and_b32 s7, s0, 0xffff
	v_mov_b32_e32 v1, v2
	v_mov_b32_e32 v3, s6
	v_mad_u64_u32 v[0:1], s[0:1], s7, v3, v[0:1]
	v_cmp_gt_i64_e32 vcc, s[8:9], v[0:1]
	s_and_saveexec_b64 s[0:1], vcc
	s_cbranch_execz .LBB18_29
; %bb.1:
	s_load_dwordx4 s[24:27], s[4:5], 0x48
	s_load_dword s2, s[4:5], 0x54
	s_load_dwordx2 s[28:29], s[4:5], 0x20
	s_load_dwordx8 s[16:23], s[4:5], 0x28
	s_waitcnt lgkmcnt(0)
	s_bitcmp1_b32 s27, 0
	s_cselect_b64 s[0:1], -1, 0
	s_bitcmp1_b32 s2, 8
	s_cselect_b64 s[2:3], -1, 0
	s_ashr_i32 s5, s16, 31
	s_mul_hi_u32 s27, s12, s16
	s_mul_i32 s5, s12, s5
	s_load_dword s4, s[30:31], 0x0
	s_ashr_i32 s6, s17, 31
	s_add_i32 s5, s27, s5
	s_mul_i32 s27, s13, s16
	s_mul_i32 s30, s12, s16
	s_add_i32 s5, s5, s27
	s_mul_i32 s6, s30, s6
	s_mul_hi_u32 s27, s30, s17
	s_add_i32 s6, s27, s6
	s_abs_i32 s27, s20
	v_cvt_f32_u32_e32 v3, s27
	s_abs_i32 s33, s21
	v_cvt_f32_u32_e32 v4, s33
	s_mul_i32 s5, s5, s17
	v_rcp_iflag_f32_e32 v3, v3
	s_add_i32 s46, s6, s5
	v_rcp_iflag_f32_e32 v4, v4
	s_sub_i32 s5, 0, s27
	v_mul_f32_e32 v3, 0x4f7ffffe, v3
	v_cvt_u32_f32_e32 v3, v3
	v_mul_f32_e32 v4, 0x4f7ffffe, v4
	v_cvt_u32_f32_e32 v4, v4
	s_mul_i32 s47, s30, s17
	v_mul_lo_u32 v5, s5, v3
	s_sub_i32 s5, 0, s33
	v_mul_lo_u32 v6, s5, v4
	s_add_i32 s48, s22, s14
	v_mul_hi_u32 v5, v3, v5
	s_add_i32 s49, s23, s28
	v_mul_hi_u32 v6, v4, v6
	s_waitcnt lgkmcnt(0)
	s_mul_i32 s50, s4, s7
	s_ashr_i32 s51, s20, 31
	v_add_u32_e32 v10, v3, v5
	s_ashr_i32 s52, s21, 31
	v_add_u32_e32 v11, v4, v6
	s_sub_i32 s53, 0, s23
	s_sub_i32 s54, s19, s23
	s_mov_b64 s[30:31], 0
	s_ashr_i32 s34, s13, 31
	s_branch .LBB18_4
.LBB18_2:                               ;   in Loop: Header=BB18_4 Depth=1
	s_or_b64 exec, exec, s[38:39]
	v_cvt_f16_f32_e32 v9, v13
.LBB18_3:                               ;   in Loop: Header=BB18_4 Depth=1
	s_or_b64 exec, exec, s[36:37]
	v_lshlrev_b64 v[3:4], 1, v[0:1]
	v_add_co_u32_e32 v0, vcc, s50, v0
	v_addc_co_u32_e32 v1, vcc, 0, v1, vcc
	v_cmp_le_i64_e32 vcc, s[8:9], v[0:1]
	v_mov_b32_e32 v5, s25
	v_add_co_u32_e64 v3, s[4:5], s24, v3
	v_addc_co_u32_e64 v4, s[4:5], v5, v4, s[4:5]
	s_or_b64 s[30:31], vcc, s[30:31]
	global_store_short v[3:4], v9, off
	s_andn2_b64 exec, exec, s[30:31]
	s_cbranch_execz .LBB18_29
.LBB18_4:                               ; =>This Loop Header: Depth=1
                                        ;     Child Loop BB18_24 Depth 2
                                        ;       Child Loop BB18_27 Depth 3
	v_or_b32_e32 v3, s13, v1
	v_cmp_ne_u64_e32 vcc, 0, v[2:3]
                                        ; implicit-def: $vgpr4_vgpr5
	s_and_saveexec_b64 s[4:5], vcc
	s_xor_b64 s[6:7], exec, s[4:5]
	s_cbranch_execz .LBB18_6
; %bb.5:                                ;   in Loop: Header=BB18_4 Depth=1
	s_add_u32 s4, s12, s34
	s_mov_b32 s35, s34
	s_addc_u32 s5, s13, s34
	s_xor_b64 s[36:37], s[4:5], s[34:35]
	v_cvt_f32_u32_e32 v3, s36
	v_cvt_f32_u32_e32 v4, s37
	s_sub_u32 s35, 0, s36
	s_subb_u32 s38, 0, s37
	v_ashrrev_i32_e32 v7, 31, v1
	v_mac_f32_e32 v3, 0x4f800000, v4
	v_rcp_f32_e32 v3, v3
	v_mul_f32_e32 v3, 0x5f7ffffc, v3
	v_mul_f32_e32 v4, 0x2f800000, v3
	v_trunc_f32_e32 v4, v4
	v_mac_f32_e32 v3, 0xcf800000, v4
	v_cvt_u32_f32_e32 v4, v4
	v_cvt_u32_f32_e32 v3, v3
	v_readfirstlane_b32 s39, v4
	v_readfirstlane_b32 s4, v3
	s_mul_i32 s5, s35, s39
	s_mul_hi_u32 s41, s35, s4
	s_mul_i32 s40, s38, s4
	s_add_i32 s5, s41, s5
	s_add_i32 s5, s5, s40
	s_mul_i32 s42, s35, s4
	s_mul_i32 s41, s4, s5
	s_mul_hi_u32 s43, s4, s42
	s_mul_hi_u32 s40, s4, s5
	s_add_u32 s41, s43, s41
	s_addc_u32 s40, 0, s40
	s_mul_hi_u32 s44, s39, s42
	s_mul_i32 s42, s39, s42
	s_add_u32 s41, s41, s42
	s_mul_hi_u32 s43, s39, s5
	s_addc_u32 s40, s40, s44
	s_addc_u32 s41, s43, 0
	s_mul_i32 s5, s39, s5
	s_add_u32 s5, s40, s5
	s_addc_u32 s40, 0, s41
	s_add_u32 s41, s4, s5
	s_cselect_b64 s[4:5], -1, 0
	s_cmp_lg_u64 s[4:5], 0
	s_addc_u32 s39, s39, s40
	s_mul_i32 s4, s35, s39
	s_mul_hi_u32 s5, s35, s41
	s_add_i32 s4, s5, s4
	s_mul_i32 s38, s38, s41
	s_add_i32 s4, s4, s38
	s_mul_i32 s35, s35, s41
	s_mul_hi_u32 s38, s39, s35
	s_mul_i32 s40, s39, s35
	s_mul_i32 s43, s41, s4
	s_mul_hi_u32 s35, s41, s35
	s_mul_hi_u32 s42, s41, s4
	s_add_u32 s35, s35, s43
	s_addc_u32 s42, 0, s42
	s_add_u32 s35, s35, s40
	s_mul_hi_u32 s5, s39, s4
	s_addc_u32 s35, s42, s38
	s_addc_u32 s5, s5, 0
	s_mul_i32 s4, s39, s4
	s_add_u32 s4, s35, s4
	s_addc_u32 s35, 0, s5
	s_add_u32 s38, s41, s4
	s_cselect_b64 s[4:5], -1, 0
	s_cmp_lg_u64 s[4:5], 0
	v_add_co_u32_e32 v3, vcc, v0, v7
	s_addc_u32 s35, s39, s35
	v_xor_b32_e32 v8, v3, v7
	v_mad_u64_u32 v[3:4], s[4:5], v8, s35, 0
	v_mul_hi_u32 v6, v8, s38
	v_addc_co_u32_e32 v5, vcc, v1, v7, vcc
	v_xor_b32_e32 v9, v5, v7
	v_add_co_u32_e32 v12, vcc, v6, v3
	v_addc_co_u32_e32 v13, vcc, 0, v4, vcc
	v_mad_u64_u32 v[3:4], s[4:5], v9, s38, 0
	v_mad_u64_u32 v[5:6], s[4:5], v9, s35, 0
	v_add_co_u32_e32 v3, vcc, v12, v3
	v_addc_co_u32_e32 v3, vcc, v13, v4, vcc
	v_addc_co_u32_e32 v4, vcc, 0, v6, vcc
	v_add_co_u32_e32 v5, vcc, v3, v5
	v_addc_co_u32_e32 v6, vcc, 0, v4, vcc
	v_mul_lo_u32 v12, s37, v5
	v_mul_lo_u32 v13, s36, v6
	v_mad_u64_u32 v[3:4], s[4:5], s36, v5, 0
	v_add3_u32 v4, v4, v13, v12
	v_sub_u32_e32 v12, v9, v4
	v_mov_b32_e32 v13, s37
	v_sub_co_u32_e32 v3, vcc, v8, v3
	v_subb_co_u32_e64 v8, s[4:5], v12, v13, vcc
	v_subrev_co_u32_e64 v12, s[4:5], s36, v3
	v_subbrev_co_u32_e64 v8, s[4:5], 0, v8, s[4:5]
	v_cmp_le_u32_e64 s[4:5], s37, v8
	v_cndmask_b32_e64 v13, 0, -1, s[4:5]
	v_cmp_le_u32_e64 s[4:5], s36, v12
	v_cndmask_b32_e64 v12, 0, -1, s[4:5]
	v_cmp_eq_u32_e64 s[4:5], s37, v8
	v_cndmask_b32_e64 v8, v13, v12, s[4:5]
	v_add_co_u32_e64 v12, s[4:5], 2, v5
	v_subb_co_u32_e32 v4, vcc, v9, v4, vcc
	v_addc_co_u32_e64 v13, s[4:5], 0, v6, s[4:5]
	v_cmp_le_u32_e32 vcc, s37, v4
	v_add_co_u32_e64 v14, s[4:5], 1, v5
	v_cndmask_b32_e64 v9, 0, -1, vcc
	v_cmp_le_u32_e32 vcc, s36, v3
	v_addc_co_u32_e64 v15, s[4:5], 0, v6, s[4:5]
	v_cndmask_b32_e64 v3, 0, -1, vcc
	v_cmp_eq_u32_e32 vcc, s37, v4
	v_cmp_ne_u32_e64 s[4:5], 0, v8
	v_cndmask_b32_e32 v3, v9, v3, vcc
	v_cmp_ne_u32_e32 vcc, 0, v3
	v_cndmask_b32_e64 v4, v14, v12, s[4:5]
	v_cndmask_b32_e64 v8, v15, v13, s[4:5]
	v_cndmask_b32_e32 v4, v5, v4, vcc
	v_xor_b32_e32 v5, s34, v7
	v_cndmask_b32_e32 v3, v6, v8, vcc
	v_xor_b32_e32 v4, v4, v5
	v_xor_b32_e32 v3, v3, v5
	v_sub_co_u32_e32 v4, vcc, v4, v5
	v_subb_co_u32_e32 v5, vcc, v3, v5, vcc
.LBB18_6:                               ;   in Loop: Header=BB18_4 Depth=1
	s_andn2_saveexec_b64 s[4:5], s[6:7]
	s_cbranch_execz .LBB18_8
; %bb.7:                                ;   in Loop: Header=BB18_4 Depth=1
	v_cvt_f32_u32_e32 v3, s12
	s_sub_i32 s6, 0, s12
	v_rcp_iflag_f32_e32 v3, v3
	v_mul_f32_e32 v3, 0x4f7ffffe, v3
	v_cvt_u32_f32_e32 v3, v3
	v_mul_lo_u32 v4, s6, v3
	v_mul_hi_u32 v4, v3, v4
	v_add_u32_e32 v3, v3, v4
	v_mul_hi_u32 v3, v0, v3
	v_mul_lo_u32 v4, v3, s12
	v_add_u32_e32 v5, 1, v3
	v_sub_u32_e32 v4, v0, v4
	v_subrev_u32_e32 v6, s12, v4
	v_cmp_le_u32_e32 vcc, s12, v4
	v_cndmask_b32_e32 v4, v4, v6, vcc
	v_cndmask_b32_e32 v3, v3, v5, vcc
	v_add_u32_e32 v5, 1, v3
	v_cmp_le_u32_e32 vcc, s12, v4
	v_cndmask_b32_e32 v4, v3, v5, vcc
	v_mov_b32_e32 v5, v2
.LBB18_8:                               ;   in Loop: Header=BB18_4 Depth=1
	s_or_b64 exec, exec, s[4:5]
	v_or_b32_e32 v3, s29, v5
	v_cmp_ne_u64_e32 vcc, 0, v[2:3]
                                        ; implicit-def: $vgpr6_vgpr7
	s_and_saveexec_b64 s[4:5], vcc
	s_xor_b64 s[6:7], exec, s[4:5]
	s_cbranch_execz .LBB18_10
; %bb.9:                                ;   in Loop: Header=BB18_4 Depth=1
	s_ashr_i32 s36, s29, 31
	s_add_u32 s4, s28, s36
	s_mov_b32 s37, s36
	s_addc_u32 s5, s29, s36
	s_xor_b64 s[38:39], s[4:5], s[36:37]
	v_cvt_f32_u32_e32 v3, s38
	v_cvt_f32_u32_e32 v6, s39
	s_sub_u32 s35, 0, s38
	s_subb_u32 s37, 0, s39
	v_mac_f32_e32 v3, 0x4f800000, v6
	v_rcp_f32_e32 v3, v3
	v_mul_f32_e32 v3, 0x5f7ffffc, v3
	v_mul_f32_e32 v6, 0x2f800000, v3
	v_trunc_f32_e32 v6, v6
	v_mac_f32_e32 v3, 0xcf800000, v6
	v_cvt_u32_f32_e32 v6, v6
	v_cvt_u32_f32_e32 v3, v3
	v_readfirstlane_b32 s40, v6
	v_readfirstlane_b32 s4, v3
	s_mul_i32 s5, s35, s40
	s_mul_hi_u32 s42, s35, s4
	s_mul_i32 s41, s37, s4
	s_add_i32 s5, s42, s5
	s_add_i32 s5, s5, s41
	s_mul_i32 s43, s35, s4
	s_mul_i32 s42, s4, s5
	s_mul_hi_u32 s44, s4, s43
	s_mul_hi_u32 s41, s4, s5
	s_add_u32 s42, s44, s42
	s_addc_u32 s41, 0, s41
	s_mul_hi_u32 s45, s40, s43
	s_mul_i32 s43, s40, s43
	s_add_u32 s42, s42, s43
	s_mul_hi_u32 s44, s40, s5
	s_addc_u32 s41, s41, s45
	s_addc_u32 s42, s44, 0
	s_mul_i32 s5, s40, s5
	s_add_u32 s5, s41, s5
	s_addc_u32 s41, 0, s42
	s_add_u32 s42, s4, s5
	s_cselect_b64 s[4:5], -1, 0
	s_cmp_lg_u64 s[4:5], 0
	s_addc_u32 s40, s40, s41
	s_mul_i32 s4, s35, s40
	s_mul_hi_u32 s5, s35, s42
	s_add_i32 s4, s5, s4
	s_mul_i32 s37, s37, s42
	s_add_i32 s4, s4, s37
	s_mul_i32 s35, s35, s42
	s_mul_hi_u32 s37, s40, s35
	s_mul_i32 s41, s40, s35
	s_mul_i32 s44, s42, s4
	s_mul_hi_u32 s35, s42, s35
	s_mul_hi_u32 s43, s42, s4
	s_add_u32 s35, s35, s44
	s_addc_u32 s43, 0, s43
	s_add_u32 s35, s35, s41
	s_mul_hi_u32 s5, s40, s4
	s_addc_u32 s35, s43, s37
	s_addc_u32 s5, s5, 0
	s_mul_i32 s4, s40, s4
	s_add_u32 s4, s35, s4
	s_addc_u32 s35, 0, s5
	s_add_u32 s37, s42, s4
	s_cselect_b64 s[4:5], -1, 0
	v_ashrrev_i32_e32 v3, 31, v5
	s_cmp_lg_u64 s[4:5], 0
	v_add_co_u32_e32 v6, vcc, v4, v3
	s_addc_u32 s35, s40, s35
	v_xor_b32_e32 v9, v6, v3
	v_addc_co_u32_e32 v7, vcc, v5, v3, vcc
	v_mad_u64_u32 v[5:6], s[4:5], v9, s35, 0
	v_mul_hi_u32 v8, v9, s37
	v_xor_b32_e32 v12, v7, v3
	v_xor_b32_e32 v3, s36, v3
	v_add_co_u32_e32 v13, vcc, v8, v5
	v_addc_co_u32_e32 v14, vcc, 0, v6, vcc
	v_mad_u64_u32 v[5:6], s[4:5], v12, s37, 0
	v_mad_u64_u32 v[7:8], s[4:5], v12, s35, 0
	v_add_co_u32_e32 v5, vcc, v13, v5
	v_addc_co_u32_e32 v5, vcc, v14, v6, vcc
	v_addc_co_u32_e32 v6, vcc, 0, v8, vcc
	v_add_co_u32_e32 v7, vcc, v5, v7
	v_addc_co_u32_e32 v8, vcc, 0, v6, vcc
	v_mul_lo_u32 v13, s39, v7
	v_mul_lo_u32 v14, s38, v8
	v_mad_u64_u32 v[5:6], s[4:5], s38, v7, 0
	v_add3_u32 v6, v6, v14, v13
	v_sub_u32_e32 v13, v12, v6
	v_mov_b32_e32 v14, s39
	v_sub_co_u32_e32 v5, vcc, v9, v5
	v_subb_co_u32_e64 v9, s[4:5], v13, v14, vcc
	v_subrev_co_u32_e64 v13, s[4:5], s38, v5
	v_subbrev_co_u32_e64 v9, s[4:5], 0, v9, s[4:5]
	v_cmp_le_u32_e64 s[4:5], s39, v9
	v_cndmask_b32_e64 v14, 0, -1, s[4:5]
	v_cmp_le_u32_e64 s[4:5], s38, v13
	v_cndmask_b32_e64 v13, 0, -1, s[4:5]
	v_cmp_eq_u32_e64 s[4:5], s39, v9
	v_cndmask_b32_e64 v9, v14, v13, s[4:5]
	v_add_co_u32_e64 v13, s[4:5], 2, v7
	v_subb_co_u32_e32 v6, vcc, v12, v6, vcc
	v_addc_co_u32_e64 v14, s[4:5], 0, v8, s[4:5]
	v_cmp_le_u32_e32 vcc, s39, v6
	v_add_co_u32_e64 v15, s[4:5], 1, v7
	v_cndmask_b32_e64 v12, 0, -1, vcc
	v_cmp_le_u32_e32 vcc, s38, v5
	v_addc_co_u32_e64 v16, s[4:5], 0, v8, s[4:5]
	v_cndmask_b32_e64 v5, 0, -1, vcc
	v_cmp_eq_u32_e32 vcc, s39, v6
	v_cmp_ne_u32_e64 s[4:5], 0, v9
	v_cndmask_b32_e32 v5, v12, v5, vcc
	v_cmp_ne_u32_e32 vcc, 0, v5
	v_cndmask_b32_e64 v6, v15, v13, s[4:5]
	v_cndmask_b32_e64 v9, v16, v14, s[4:5]
	v_cndmask_b32_e32 v6, v7, v6, vcc
	v_cndmask_b32_e32 v5, v8, v9, vcc
	v_xor_b32_e32 v6, v6, v3
	v_xor_b32_e32 v5, v5, v3
	v_sub_co_u32_e32 v6, vcc, v6, v3
	v_subb_co_u32_e32 v7, vcc, v5, v3, vcc
.LBB18_10:                              ;   in Loop: Header=BB18_4 Depth=1
	s_andn2_saveexec_b64 s[4:5], s[6:7]
	s_cbranch_execz .LBB18_12
; %bb.11:                               ;   in Loop: Header=BB18_4 Depth=1
	v_cvt_f32_u32_e32 v3, s28
	s_sub_i32 s6, 0, s28
	v_rcp_iflag_f32_e32 v3, v3
	v_mul_f32_e32 v3, 0x4f7ffffe, v3
	v_cvt_u32_f32_e32 v3, v3
	v_mul_lo_u32 v5, s6, v3
	v_mul_hi_u32 v5, v3, v5
	v_add_u32_e32 v3, v3, v5
	v_mul_hi_u32 v3, v4, v3
	v_mul_lo_u32 v5, v3, s28
	v_add_u32_e32 v6, 1, v3
	v_sub_u32_e32 v5, v4, v5
	v_subrev_u32_e32 v7, s28, v5
	v_cmp_le_u32_e32 vcc, s28, v5
	v_cndmask_b32_e32 v5, v5, v7, vcc
	v_cndmask_b32_e32 v3, v3, v6, vcc
	v_add_u32_e32 v6, 1, v3
	v_cmp_le_u32_e32 vcc, s28, v5
	v_cndmask_b32_e32 v6, v3, v6, vcc
	v_mov_b32_e32 v7, v2
.LBB18_12:                              ;   in Loop: Header=BB18_4 Depth=1
	s_or_b64 exec, exec, s[4:5]
	v_or_b32_e32 v3, s15, v7
	v_cmp_ne_u64_e32 vcc, 0, v[2:3]
                                        ; implicit-def: $vgpr8_vgpr9
	s_and_saveexec_b64 s[4:5], vcc
	s_xor_b64 s[6:7], exec, s[4:5]
	s_cbranch_execz .LBB18_14
; %bb.13:                               ;   in Loop: Header=BB18_4 Depth=1
	s_ashr_i32 s36, s15, 31
	s_add_u32 s4, s14, s36
	s_mov_b32 s37, s36
	s_addc_u32 s5, s15, s36
	s_xor_b64 s[38:39], s[4:5], s[36:37]
	v_cvt_f32_u32_e32 v3, s38
	v_cvt_f32_u32_e32 v5, s39
	s_sub_u32 s35, 0, s38
	s_subb_u32 s37, 0, s39
	v_mac_f32_e32 v3, 0x4f800000, v5
	v_rcp_f32_e32 v3, v3
	v_mul_f32_e32 v3, 0x5f7ffffc, v3
	v_mul_f32_e32 v5, 0x2f800000, v3
	v_trunc_f32_e32 v5, v5
	v_mac_f32_e32 v3, 0xcf800000, v5
	v_cvt_u32_f32_e32 v5, v5
	v_cvt_u32_f32_e32 v3, v3
	v_readfirstlane_b32 s40, v5
	v_readfirstlane_b32 s4, v3
	s_mul_i32 s5, s35, s40
	s_mul_hi_u32 s42, s35, s4
	s_mul_i32 s41, s37, s4
	s_add_i32 s5, s42, s5
	s_add_i32 s5, s5, s41
	s_mul_i32 s43, s35, s4
	s_mul_i32 s42, s4, s5
	s_mul_hi_u32 s44, s4, s43
	s_mul_hi_u32 s41, s4, s5
	s_add_u32 s42, s44, s42
	s_addc_u32 s41, 0, s41
	s_mul_hi_u32 s45, s40, s43
	s_mul_i32 s43, s40, s43
	s_add_u32 s42, s42, s43
	s_mul_hi_u32 s44, s40, s5
	s_addc_u32 s41, s41, s45
	s_addc_u32 s42, s44, 0
	s_mul_i32 s5, s40, s5
	s_add_u32 s5, s41, s5
	s_addc_u32 s41, 0, s42
	s_add_u32 s42, s4, s5
	s_cselect_b64 s[4:5], -1, 0
	s_cmp_lg_u64 s[4:5], 0
	s_addc_u32 s40, s40, s41
	s_mul_i32 s4, s35, s40
	s_mul_hi_u32 s5, s35, s42
	s_add_i32 s4, s5, s4
	s_mul_i32 s37, s37, s42
	s_add_i32 s4, s4, s37
	s_mul_i32 s35, s35, s42
	s_mul_hi_u32 s37, s40, s35
	s_mul_i32 s41, s40, s35
	s_mul_i32 s44, s42, s4
	s_mul_hi_u32 s35, s42, s35
	s_mul_hi_u32 s43, s42, s4
	s_add_u32 s35, s35, s44
	s_addc_u32 s43, 0, s43
	s_add_u32 s35, s35, s41
	s_mul_hi_u32 s5, s40, s4
	s_addc_u32 s35, s43, s37
	s_addc_u32 s5, s5, 0
	s_mul_i32 s4, s40, s4
	s_add_u32 s4, s35, s4
	s_addc_u32 s35, 0, s5
	s_add_u32 s37, s42, s4
	s_cselect_b64 s[4:5], -1, 0
	v_ashrrev_i32_e32 v3, 31, v7
	s_cmp_lg_u64 s[4:5], 0
	v_add_co_u32_e32 v5, vcc, v6, v3
	s_addc_u32 s35, s40, s35
	v_xor_b32_e32 v5, v5, v3
	v_addc_co_u32_e32 v9, vcc, v7, v3, vcc
	v_mad_u64_u32 v[7:8], s[4:5], v5, s35, 0
	v_mul_hi_u32 v12, v5, s37
	v_xor_b32_e32 v9, v9, v3
	v_xor_b32_e32 v3, s36, v3
	v_add_co_u32_e32 v14, vcc, v12, v7
	v_addc_co_u32_e32 v15, vcc, 0, v8, vcc
	v_mad_u64_u32 v[7:8], s[4:5], v9, s37, 0
	v_mad_u64_u32 v[12:13], s[4:5], v9, s35, 0
	v_add_co_u32_e32 v7, vcc, v14, v7
	v_addc_co_u32_e32 v7, vcc, v15, v8, vcc
	v_addc_co_u32_e32 v8, vcc, 0, v13, vcc
	v_add_co_u32_e32 v12, vcc, v7, v12
	v_addc_co_u32_e32 v7, vcc, 0, v8, vcc
	v_mul_lo_u32 v13, s39, v12
	v_mul_lo_u32 v14, s38, v7
	v_mad_u64_u32 v[7:8], s[4:5], s38, v12, 0
	v_add3_u32 v8, v8, v14, v13
	v_sub_u32_e32 v13, v9, v8
	v_mov_b32_e32 v14, s39
	v_sub_co_u32_e32 v5, vcc, v5, v7
	v_subb_co_u32_e64 v7, s[4:5], v13, v14, vcc
	v_subrev_co_u32_e64 v13, s[4:5], s38, v5
	v_subbrev_co_u32_e64 v7, s[4:5], 0, v7, s[4:5]
	v_cmp_le_u32_e64 s[4:5], s39, v7
	v_subb_co_u32_e32 v8, vcc, v9, v8, vcc
	v_cndmask_b32_e64 v14, 0, -1, s[4:5]
	v_cmp_le_u32_e64 s[4:5], s38, v13
	v_cmp_le_u32_e32 vcc, s39, v8
	v_cndmask_b32_e64 v13, 0, -1, s[4:5]
	v_cmp_eq_u32_e64 s[4:5], s39, v7
	v_cndmask_b32_e64 v9, 0, -1, vcc
	v_cmp_le_u32_e32 vcc, s38, v5
	v_cndmask_b32_e64 v7, v14, v13, s[4:5]
	v_cndmask_b32_e64 v5, 0, -1, vcc
	v_cmp_eq_u32_e32 vcc, s39, v8
	v_add_co_u32_e64 v13, s[4:5], 2, v12
	v_add_co_u32_e64 v14, s[4:5], 1, v12
	v_cndmask_b32_e32 v5, v9, v5, vcc
	v_cmp_ne_u32_e32 vcc, 0, v7
	v_cndmask_b32_e32 v7, v14, v13, vcc
	v_cmp_ne_u32_e32 vcc, 0, v5
	v_cndmask_b32_e32 v5, v12, v7, vcc
	v_xor_b32_e32 v5, v5, v3
	v_sub_co_u32_e32 v8, vcc, v5, v3
.LBB18_14:                              ;   in Loop: Header=BB18_4 Depth=1
	s_andn2_saveexec_b64 s[4:5], s[6:7]
	s_cbranch_execz .LBB18_16
; %bb.15:                               ;   in Loop: Header=BB18_4 Depth=1
	v_cvt_f32_u32_e32 v3, s14
	s_sub_i32 s6, 0, s14
	v_rcp_iflag_f32_e32 v3, v3
	v_mul_f32_e32 v3, 0x4f7ffffe, v3
	v_cvt_u32_f32_e32 v3, v3
	v_mul_lo_u32 v5, s6, v3
	v_mul_hi_u32 v5, v3, v5
	v_add_u32_e32 v3, v3, v5
	v_mul_hi_u32 v3, v6, v3
	v_mul_lo_u32 v5, v3, s14
	v_add_u32_e32 v7, 1, v3
	v_sub_u32_e32 v5, v6, v5
	v_subrev_u32_e32 v8, s14, v5
	v_cmp_le_u32_e32 vcc, s14, v5
	v_cndmask_b32_e32 v5, v5, v8, vcc
	v_cndmask_b32_e32 v3, v3, v7, vcc
	v_add_u32_e32 v7, 1, v3
	v_cmp_le_u32_e32 vcc, s14, v5
	v_cndmask_b32_e32 v8, v3, v7, vcc
.LBB18_16:                              ;   in Loop: Header=BB18_4 Depth=1
	s_or_b64 exec, exec, s[4:5]
	v_mul_lo_u32 v3, v8, s14
	v_mov_b32_e32 v5, 0
	v_mov_b32_e32 v7, 0
	v_sub_u32_e32 v9, v6, v3
	v_cmp_le_i32_e32 vcc, s18, v9
	s_and_saveexec_b64 s[4:5], vcc
	s_cbranch_execz .LBB18_18
; %bb.17:                               ;   in Loop: Header=BB18_4 Depth=1
	v_subrev_u32_e32 v3, s18, v9
	v_mul_hi_u32 v7, v3, v10
	v_mul_lo_u32 v12, v7, s27
	v_add_u32_e32 v13, 1, v7
	v_sub_u32_e32 v3, v3, v12
	v_cmp_le_u32_e32 vcc, s27, v3
	v_subrev_u32_e32 v12, s27, v3
	v_cndmask_b32_e32 v7, v7, v13, vcc
	v_cndmask_b32_e32 v3, v3, v12, vcc
	v_add_u32_e32 v12, 1, v7
	v_cmp_le_u32_e32 vcc, s27, v3
	v_cndmask_b32_e32 v3, v7, v12, vcc
	v_xor_b32_e32 v3, s51, v3
	v_subrev_u32_e32 v3, s51, v3
	v_add_u32_e32 v7, 1, v3
.LBB18_18:                              ;   in Loop: Header=BB18_4 Depth=1
	s_or_b64 exec, exec, s[4:5]
	v_mul_lo_u32 v3, v6, s28
	v_sub_u32_e32 v3, v4, v3
	v_cmp_le_i32_e32 vcc, s19, v3
	s_and_saveexec_b64 s[4:5], vcc
	s_cbranch_execz .LBB18_20
; %bb.19:                               ;   in Loop: Header=BB18_4 Depth=1
	v_subrev_u32_e32 v5, s19, v3
	v_mul_hi_u32 v6, v5, v11
	v_mul_lo_u32 v12, v6, s33
	v_add_u32_e32 v13, 1, v6
	v_sub_u32_e32 v5, v5, v12
	v_cmp_le_u32_e32 vcc, s33, v5
	v_subrev_u32_e32 v12, s33, v5
	v_cndmask_b32_e32 v6, v6, v13, vcc
	v_cndmask_b32_e32 v5, v5, v12, vcc
	v_add_u32_e32 v12, 1, v6
	v_cmp_le_u32_e32 vcc, s33, v5
	v_cndmask_b32_e32 v5, v6, v12, vcc
	v_xor_b32_e32 v5, s52, v5
	v_subrev_u32_e32 v5, s52, v5
	v_add_u32_e32 v5, 1, v5
.LBB18_20:                              ;   in Loop: Header=BB18_4 Depth=1
	s_or_b64 exec, exec, s[4:5]
	v_sub_u32_e32 v6, 0, v9
	v_max_i32_e32 v6, v9, v6
	v_mul_hi_u32 v12, v6, v10
	v_ashrrev_i32_e32 v9, 31, v9
	v_xor_b32_e32 v9, s51, v9
	v_mul_lo_u32 v13, v12, s27
	v_add_u32_e32 v14, 1, v12
	v_sub_u32_e32 v6, v6, v13
	v_cmp_le_u32_e32 vcc, s27, v6
	v_subrev_u32_e32 v13, s27, v6
	v_cndmask_b32_e32 v12, v12, v14, vcc
	v_cndmask_b32_e32 v6, v6, v13, vcc
	v_add_u32_e32 v13, 1, v12
	v_cmp_le_u32_e32 vcc, s27, v6
	v_cndmask_b32_e32 v6, v12, v13, vcc
	v_xor_b32_e32 v6, v6, v9
	v_sub_u32_e32 v6, v6, v9
	v_add_u32_e32 v6, 1, v6
	v_min_i32_e32 v6, s16, v6
	v_cmp_lt_i32_e32 vcc, v7, v6
	v_mov_b32_e32 v9, 0
	s_and_saveexec_b64 s[36:37], vcc
	s_cbranch_execz .LBB18_3
; %bb.21:                               ;   in Loop: Header=BB18_4 Depth=1
	v_sub_u32_e32 v9, 0, v3
	v_max_i32_e32 v9, v3, v9
	v_mul_hi_u32 v12, v9, v11
	v_mul_lo_u32 v4, v4, s12
	v_ashrrev_i32_e32 v3, 31, v3
	v_xor_b32_e32 v14, s52, v3
	v_mul_lo_u32 v13, v12, s33
	v_sub_u32_e32 v3, v0, v4
	v_add_u32_e32 v4, 1, v12
	v_mul_lo_u32 v15, s21, v5
	v_sub_u32_e32 v9, v9, v13
	v_cmp_le_u32_e32 vcc, s33, v9
	v_cndmask_b32_e32 v4, v12, v4, vcc
	v_subrev_u32_e32 v12, s33, v9
	v_cndmask_b32_e32 v9, v9, v12, vcc
	v_add_u32_e32 v12, 1, v4
	v_cmp_le_u32_e32 vcc, s33, v9
	v_ashrrev_i32_e32 v9, 31, v8
	v_cndmask_b32_e32 v4, v4, v12, vcc
	v_mul_lo_u32 v12, s46, v8
	v_mul_lo_u32 v13, s47, v9
	v_mad_u64_u32 v[8:9], s[4:5], s47, v8, 0
	v_xor_b32_e32 v4, v4, v14
	v_sub_u32_e32 v4, v4, v14
	v_add3_u32 v9, v9, v13, v12
	v_lshlrev_b64 v[8:9], 1, v[8:9]
	v_mov_b32_e32 v12, s11
	v_add_co_u32_e32 v13, vcc, s10, v8
	v_addc_co_u32_e32 v12, vcc, v12, v9, vcc
	v_ashrrev_i64 v[8:9], 31, v[2:3]
	v_add_u32_e32 v4, 1, v4
	v_add_co_u32_e32 v3, vcc, v13, v8
	v_addc_co_u32_e32 v8, vcc, v12, v9, vcc
	v_mul_lo_u32 v9, s17, v7
	v_min_i32_e32 v4, s17, v4
	v_cmp_lt_i32_e32 vcc, v5, v4
	v_add_u32_e32 v12, s53, v15
	v_add_u32_e32 v14, s54, v15
	v_sub_u32_e32 v15, s23, v15
	v_mov_b32_e32 v13, 0
	s_mov_b64 s[38:39], 0
	s_branch .LBB18_24
.LBB18_22:                              ;   in Loop: Header=BB18_24 Depth=2
	s_or_b64 exec, exec, s[42:43]
.LBB18_23:                              ;   in Loop: Header=BB18_24 Depth=2
	s_or_b64 exec, exec, s[40:41]
	v_add_u32_e32 v7, 1, v7
	v_cmp_ge_i32_e64 s[4:5], v7, v6
	s_or_b64 s[38:39], s[4:5], s[38:39]
	v_add_u32_e32 v9, s17, v9
	s_andn2_b64 exec, exec, s[38:39]
	s_cbranch_execz .LBB18_2
.LBB18_24:                              ;   Parent Loop BB18_4 Depth=1
                                        ; =>  This Loop Header: Depth=2
                                        ;       Child Loop BB18_27 Depth 3
	s_and_saveexec_b64 s[40:41], vcc
	s_cbranch_execz .LBB18_23
; %bb.25:                               ;   in Loop: Header=BB18_24 Depth=2
	v_mul_lo_u32 v16, v7, s20
	s_mov_b64 s[42:43], 0
	v_mov_b32_e32 v20, v12
	v_mov_b32_e32 v21, v5
	v_subrev_u32_e32 v16, s22, v16
	v_add_u32_e32 v17, s18, v16
	v_min_i32_e32 v17, s48, v17
	v_max_i32_e32 v18, 0, v16
	v_min_i32_e32 v19, s14, v17
	v_sub_u32_e32 v16, v17, v16
	v_cmp_gt_i32_e64 s[4:5], v19, v18
	v_sub_u32_e32 v17, v19, v18
	v_mov_b32_e32 v18, v15
	v_mov_b32_e32 v19, v14
	s_branch .LBB18_27
.LBB18_26:                              ;   in Loop: Header=BB18_27 Depth=3
	s_or_b64 exec, exec, s[44:45]
	v_add_u32_e32 v21, 1, v21
	v_cmp_ge_i32_e64 s[6:7], v21, v4
	v_add_u32_e32 v20, s21, v20
	v_add_u32_e32 v19, s21, v19
	s_or_b64 s[42:43], s[6:7], s[42:43]
	v_subrev_u32_e32 v18, s21, v18
	s_andn2_b64 exec, exec, s[42:43]
	s_cbranch_execz .LBB18_22
.LBB18_27:                              ;   Parent Loop BB18_4 Depth=1
                                        ;     Parent Loop BB18_24 Depth=2
                                        ; =>    This Inner Loop Header: Depth=3
	v_add_u32_e32 v23, s19, v20
	v_mov_b32_e32 v24, s28
	v_max_i32_e32 v22, 0, v20
	v_min3_i32 v23, v23, s49, v24
	v_cmp_gt_i32_e64 s[6:7], v23, v22
	s_and_b64 s[6:7], s[4:5], s[6:7]
	s_and_saveexec_b64 s[44:45], s[6:7]
	s_cbranch_execz .LBB18_26
; %bb.28:                               ;   in Loop: Header=BB18_27 Depth=3
	v_add_u32_e32 v24, v9, v21
	v_ashrrev_i32_e32 v26, 31, v24
	v_mul_lo_u32 v27, s13, v24
	v_mad_u64_u32 v[24:25], s[6:7], s12, v24, 0
	v_mul_lo_u32 v26, s12, v26
	v_sub_u32_e32 v22, v23, v22
	v_mul_lo_u32 v22, v22, v17
	v_mov_b32_e32 v23, s26
	v_add3_u32 v25, v25, v26, v27
	v_lshlrev_b64 v[24:25], 1, v[24:25]
	v_add_co_u32_e64 v24, s[6:7], v3, v24
	v_addc_co_u32_e64 v25, s[6:7], v8, v25, s[6:7]
	global_load_ushort v24, v[24:25], off
	v_min_i32_e32 v25, s49, v19
	v_add_u32_e32 v25, v25, v18
	v_mul_lo_u32 v25, v25, v16
	v_cndmask_b32_e64 v22, v22, v25, s[0:1]
	v_cndmask_b32_e64 v22, v22, v23, s[2:3]
	v_cvt_f32_i32_e32 v22, v22
	v_cvt_f16_f32_e32 v22, v22
	v_cvt_f32_f16_e32 v23, v22
	v_rcp_f32_e32 v25, v23
	s_waitcnt vmcnt(0)
	v_cvt_f32_f16_e32 v26, v24
	v_mul_f32_e32 v27, v26, v25
	v_mad_f32 v28, -v23, v27, v26
	v_mac_f32_e32 v27, v28, v25
	v_mad_f32 v23, -v23, v27, v26
	v_mul_f32_e32 v23, v23, v25
	v_and_b32_e32 v23, 0xff800000, v23
	v_add_f32_e32 v23, v23, v27
	v_cvt_f16_f32_e32 v23, v23
	v_div_fixup_f16 v22, v23, v22, v24
	v_cvt_f32_f16_e32 v22, v22
	v_add_f32_e32 v13, v13, v22
	s_branch .LBB18_26
.LBB18_29:
	s_endpgm
	.section	.rodata,"a",@progbits
	.p2align	6, 0x0
	.amdhsa_kernel _ZN2at6native12_GLOBAL__N_139avg_pool2d_backward_out_cuda_frame_nhwcIN3c104HalfEflEEvT1_PKT_llliiiiiiiiPS6_ibb
		.amdhsa_group_segment_fixed_size 0
		.amdhsa_private_segment_fixed_size 0
		.amdhsa_kernarg_size 344
		.amdhsa_user_sgpr_count 6
		.amdhsa_user_sgpr_private_segment_buffer 1
		.amdhsa_user_sgpr_dispatch_ptr 0
		.amdhsa_user_sgpr_queue_ptr 0
		.amdhsa_user_sgpr_kernarg_segment_ptr 1
		.amdhsa_user_sgpr_dispatch_id 0
		.amdhsa_user_sgpr_flat_scratch_init 0
		.amdhsa_user_sgpr_private_segment_size 0
		.amdhsa_uses_dynamic_stack 0
		.amdhsa_system_sgpr_private_segment_wavefront_offset 0
		.amdhsa_system_sgpr_workgroup_id_x 1
		.amdhsa_system_sgpr_workgroup_id_y 0
		.amdhsa_system_sgpr_workgroup_id_z 0
		.amdhsa_system_sgpr_workgroup_info 0
		.amdhsa_system_vgpr_workitem_id 0
		.amdhsa_next_free_vgpr 29
		.amdhsa_next_free_sgpr 55
		.amdhsa_reserve_vcc 1
		.amdhsa_reserve_flat_scratch 0
		.amdhsa_float_round_mode_32 0
		.amdhsa_float_round_mode_16_64 0
		.amdhsa_float_denorm_mode_32 3
		.amdhsa_float_denorm_mode_16_64 3
		.amdhsa_dx10_clamp 1
		.amdhsa_ieee_mode 1
		.amdhsa_fp16_overflow 0
		.amdhsa_exception_fp_ieee_invalid_op 0
		.amdhsa_exception_fp_denorm_src 0
		.amdhsa_exception_fp_ieee_div_zero 0
		.amdhsa_exception_fp_ieee_overflow 0
		.amdhsa_exception_fp_ieee_underflow 0
		.amdhsa_exception_fp_ieee_inexact 0
		.amdhsa_exception_int_div_zero 0
	.end_amdhsa_kernel
	.section	.text._ZN2at6native12_GLOBAL__N_139avg_pool2d_backward_out_cuda_frame_nhwcIN3c104HalfEflEEvT1_PKT_llliiiiiiiiPS6_ibb,"axG",@progbits,_ZN2at6native12_GLOBAL__N_139avg_pool2d_backward_out_cuda_frame_nhwcIN3c104HalfEflEEvT1_PKT_llliiiiiiiiPS6_ibb,comdat
.Lfunc_end18:
	.size	_ZN2at6native12_GLOBAL__N_139avg_pool2d_backward_out_cuda_frame_nhwcIN3c104HalfEflEEvT1_PKT_llliiiiiiiiPS6_ibb, .Lfunc_end18-_ZN2at6native12_GLOBAL__N_139avg_pool2d_backward_out_cuda_frame_nhwcIN3c104HalfEflEEvT1_PKT_llliiiiiiiiPS6_ibb
                                        ; -- End function
	.set _ZN2at6native12_GLOBAL__N_139avg_pool2d_backward_out_cuda_frame_nhwcIN3c104HalfEflEEvT1_PKT_llliiiiiiiiPS6_ibb.num_vgpr, 29
	.set _ZN2at6native12_GLOBAL__N_139avg_pool2d_backward_out_cuda_frame_nhwcIN3c104HalfEflEEvT1_PKT_llliiiiiiiiPS6_ibb.num_agpr, 0
	.set _ZN2at6native12_GLOBAL__N_139avg_pool2d_backward_out_cuda_frame_nhwcIN3c104HalfEflEEvT1_PKT_llliiiiiiiiPS6_ibb.numbered_sgpr, 55
	.set _ZN2at6native12_GLOBAL__N_139avg_pool2d_backward_out_cuda_frame_nhwcIN3c104HalfEflEEvT1_PKT_llliiiiiiiiPS6_ibb.num_named_barrier, 0
	.set _ZN2at6native12_GLOBAL__N_139avg_pool2d_backward_out_cuda_frame_nhwcIN3c104HalfEflEEvT1_PKT_llliiiiiiiiPS6_ibb.private_seg_size, 0
	.set _ZN2at6native12_GLOBAL__N_139avg_pool2d_backward_out_cuda_frame_nhwcIN3c104HalfEflEEvT1_PKT_llliiiiiiiiPS6_ibb.uses_vcc, 1
	.set _ZN2at6native12_GLOBAL__N_139avg_pool2d_backward_out_cuda_frame_nhwcIN3c104HalfEflEEvT1_PKT_llliiiiiiiiPS6_ibb.uses_flat_scratch, 0
	.set _ZN2at6native12_GLOBAL__N_139avg_pool2d_backward_out_cuda_frame_nhwcIN3c104HalfEflEEvT1_PKT_llliiiiiiiiPS6_ibb.has_dyn_sized_stack, 0
	.set _ZN2at6native12_GLOBAL__N_139avg_pool2d_backward_out_cuda_frame_nhwcIN3c104HalfEflEEvT1_PKT_llliiiiiiiiPS6_ibb.has_recursion, 0
	.set _ZN2at6native12_GLOBAL__N_139avg_pool2d_backward_out_cuda_frame_nhwcIN3c104HalfEflEEvT1_PKT_llliiiiiiiiPS6_ibb.has_indirect_call, 0
	.section	.AMDGPU.csdata,"",@progbits
; Kernel info:
; codeLenInByte = 3472
; TotalNumSgprs: 59
; NumVgprs: 29
; ScratchSize: 0
; MemoryBound: 0
; FloatMode: 240
; IeeeMode: 1
; LDSByteSize: 0 bytes/workgroup (compile time only)
; SGPRBlocks: 7
; VGPRBlocks: 7
; NumSGPRsForWavesPerEU: 59
; NumVGPRsForWavesPerEU: 29
; Occupancy: 8
; WaveLimiterHint : 0
; COMPUTE_PGM_RSRC2:SCRATCH_EN: 0
; COMPUTE_PGM_RSRC2:USER_SGPR: 6
; COMPUTE_PGM_RSRC2:TRAP_HANDLER: 0
; COMPUTE_PGM_RSRC2:TGID_X_EN: 1
; COMPUTE_PGM_RSRC2:TGID_Y_EN: 0
; COMPUTE_PGM_RSRC2:TGID_Z_EN: 0
; COMPUTE_PGM_RSRC2:TIDIG_COMP_CNT: 0
	.section	.text._ZN2at6native12_GLOBAL__N_134avg_pool2d_backward_out_cuda_frameIN3c104HalfEflEEvT1_PKT_llllliiiiiiPS6_ibb,"axG",@progbits,_ZN2at6native12_GLOBAL__N_134avg_pool2d_backward_out_cuda_frameIN3c104HalfEflEEvT1_PKT_llllliiiiiiPS6_ibb,comdat
	.globl	_ZN2at6native12_GLOBAL__N_134avg_pool2d_backward_out_cuda_frameIN3c104HalfEflEEvT1_PKT_llllliiiiiiPS6_ibb ; -- Begin function _ZN2at6native12_GLOBAL__N_134avg_pool2d_backward_out_cuda_frameIN3c104HalfEflEEvT1_PKT_llllliiiiiiPS6_ibb
	.p2align	8
	.type	_ZN2at6native12_GLOBAL__N_134avg_pool2d_backward_out_cuda_frameIN3c104HalfEflEEvT1_PKT_llllliiiiiiPS6_ibb,@function
_ZN2at6native12_GLOBAL__N_134avg_pool2d_backward_out_cuda_frameIN3c104HalfEflEEvT1_PKT_llllliiiiiiPS6_ibb: ; @_ZN2at6native12_GLOBAL__N_134avg_pool2d_backward_out_cuda_frameIN3c104HalfEflEEvT1_PKT_llllliiiiiiPS6_ibb
; %bb.0:
	s_load_dword s2, s[4:5], 0x6c
	s_load_dwordx8 s[8:15], s[4:5], 0x0
	s_add_u32 s0, s4, 0x60
	v_mov_b32_e32 v2, 0
	s_addc_u32 s1, s5, 0
	s_waitcnt lgkmcnt(0)
	s_and_b32 s7, s2, 0xffff
	v_mov_b32_e32 v1, v2
	v_mov_b32_e32 v3, s6
	v_mad_u64_u32 v[0:1], s[2:3], s7, v3, v[0:1]
	v_cmp_gt_i64_e32 vcc, s[8:9], v[0:1]
	s_and_saveexec_b64 s[2:3], vcc
	s_cbranch_execz .LBB19_29
; %bb.1:
	s_load_dwordx2 s[34:35], s[4:5], 0x58
	s_load_dword s2, s[4:5], 0x5c
	s_load_dwordx8 s[16:23], s[4:5], 0x38
	s_load_dword s6, s[0:1], 0x0
	s_load_dwordx8 s[24:31], s[4:5], 0x20
	s_waitcnt lgkmcnt(0)
	s_bitcmp1_b32 s35, 0
	s_cselect_b64 s[0:1], -1, 0
	s_bitcmp1_b32 s2, 8
	s_cselect_b64 s[2:3], -1, 0
	s_abs_i32 s33, s18
	v_cvt_f32_u32_e32 v3, s33
	s_abs_i32 s35, s19
	v_cvt_f32_u32_e32 v4, s35
	s_sub_i32 s4, 0, s33
	v_rcp_iflag_f32_e32 v3, v3
	s_mul_i32 s50, s6, s7
	v_rcp_iflag_f32_e32 v4, v4
	s_add_i32 s51, s20, s14
	v_mul_f32_e32 v3, 0x4f7ffffe, v3
	v_cvt_u32_f32_e32 v3, v3
	v_mul_f32_e32 v4, 0x4f7ffffe, v4
	v_cvt_u32_f32_e32 v4, v4
	s_add_i32 s52, s21, s24
	v_mul_lo_u32 v5, s4, v3
	s_sub_i32 s4, 0, s35
	v_mul_lo_u32 v6, s4, v4
	s_ashr_i32 s53, s18, 31
	v_mul_hi_u32 v5, v3, v5
	s_ashr_i32 s54, s19, 31
	v_mul_hi_u32 v6, v4, v6
	s_lshl_b64 s[30:31], s[26:27], 1
	v_add_u32_e32 v10, v3, v5
	s_lshl_b64 s[36:37], s[28:29], 1
	v_add_u32_e32 v11, v4, v6
	s_sub_i32 s27, 0, s21
	s_sub_i32 s55, s17, s21
	s_mov_b64 s[38:39], 0
	s_ashr_i32 s40, s25, 31
	s_branch .LBB19_4
.LBB19_2:                               ;   in Loop: Header=BB19_4 Depth=1
	s_or_b64 exec, exec, s[44:45]
	v_cvt_f16_f32_e32 v7, v14
.LBB19_3:                               ;   in Loop: Header=BB19_4 Depth=1
	s_or_b64 exec, exec, s[42:43]
	v_lshlrev_b64 v[3:4], 1, v[0:1]
	v_add_co_u32_e32 v0, vcc, s50, v0
	v_addc_co_u32_e32 v1, vcc, 0, v1, vcc
	v_cmp_le_i64_e32 vcc, s[8:9], v[0:1]
	v_mov_b32_e32 v5, s23
	v_add_co_u32_e64 v3, s[4:5], s22, v3
	v_addc_co_u32_e64 v4, s[4:5], v5, v4, s[4:5]
	s_or_b64 s[38:39], vcc, s[38:39]
	global_store_short v[3:4], v7, off
	s_andn2_b64 exec, exec, s[38:39]
	s_cbranch_execz .LBB19_29
.LBB19_4:                               ; =>This Loop Header: Depth=1
                                        ;     Child Loop BB19_24 Depth 2
                                        ;       Child Loop BB19_27 Depth 3
	v_or_b32_e32 v3, s25, v1
	v_cmp_ne_u64_e32 vcc, 0, v[2:3]
                                        ; implicit-def: $vgpr4_vgpr5
	s_and_saveexec_b64 s[4:5], vcc
	s_xor_b64 s[6:7], exec, s[4:5]
	s_cbranch_execz .LBB19_6
; %bb.5:                                ;   in Loop: Header=BB19_4 Depth=1
	s_add_u32 s4, s24, s40
	s_mov_b32 s41, s40
	s_addc_u32 s5, s25, s40
	s_xor_b64 s[42:43], s[4:5], s[40:41]
	v_cvt_f32_u32_e32 v3, s42
	v_cvt_f32_u32_e32 v4, s43
	s_sub_u32 s41, 0, s42
	s_subb_u32 s44, 0, s43
	v_ashrrev_i32_e32 v7, 31, v1
	v_mac_f32_e32 v3, 0x4f800000, v4
	v_rcp_f32_e32 v3, v3
	v_mul_f32_e32 v3, 0x5f7ffffc, v3
	v_mul_f32_e32 v4, 0x2f800000, v3
	v_trunc_f32_e32 v4, v4
	v_mac_f32_e32 v3, 0xcf800000, v4
	v_cvt_u32_f32_e32 v4, v4
	v_cvt_u32_f32_e32 v3, v3
	v_readfirstlane_b32 s45, v4
	v_readfirstlane_b32 s4, v3
	s_mul_i32 s5, s41, s45
	s_mul_hi_u32 s47, s41, s4
	s_mul_i32 s46, s44, s4
	s_add_i32 s5, s47, s5
	s_add_i32 s5, s5, s46
	s_mul_i32 s48, s41, s4
	s_mul_i32 s47, s4, s5
	s_mul_hi_u32 s49, s4, s48
	s_mul_hi_u32 s46, s4, s5
	s_add_u32 s47, s49, s47
	s_addc_u32 s46, 0, s46
	s_mul_hi_u32 s56, s45, s48
	s_mul_i32 s48, s45, s48
	s_add_u32 s47, s47, s48
	s_mul_hi_u32 s49, s45, s5
	s_addc_u32 s46, s46, s56
	s_addc_u32 s47, s49, 0
	s_mul_i32 s5, s45, s5
	s_add_u32 s5, s46, s5
	s_addc_u32 s46, 0, s47
	s_add_u32 s47, s4, s5
	s_cselect_b64 s[4:5], -1, 0
	s_cmp_lg_u64 s[4:5], 0
	s_addc_u32 s45, s45, s46
	s_mul_i32 s4, s41, s45
	s_mul_hi_u32 s5, s41, s47
	s_add_i32 s4, s5, s4
	s_mul_i32 s44, s44, s47
	s_add_i32 s4, s4, s44
	s_mul_i32 s41, s41, s47
	s_mul_hi_u32 s44, s45, s41
	s_mul_i32 s46, s45, s41
	s_mul_i32 s49, s47, s4
	s_mul_hi_u32 s41, s47, s41
	s_mul_hi_u32 s48, s47, s4
	s_add_u32 s41, s41, s49
	s_addc_u32 s48, 0, s48
	s_add_u32 s41, s41, s46
	s_mul_hi_u32 s5, s45, s4
	s_addc_u32 s41, s48, s44
	s_addc_u32 s5, s5, 0
	s_mul_i32 s4, s45, s4
	s_add_u32 s4, s41, s4
	s_addc_u32 s41, 0, s5
	s_add_u32 s44, s47, s4
	s_cselect_b64 s[4:5], -1, 0
	s_cmp_lg_u64 s[4:5], 0
	v_add_co_u32_e32 v3, vcc, v0, v7
	s_addc_u32 s41, s45, s41
	v_xor_b32_e32 v8, v3, v7
	v_mad_u64_u32 v[3:4], s[4:5], v8, s41, 0
	v_mul_hi_u32 v6, v8, s44
	v_addc_co_u32_e32 v5, vcc, v1, v7, vcc
	v_xor_b32_e32 v9, v5, v7
	v_add_co_u32_e32 v12, vcc, v6, v3
	v_addc_co_u32_e32 v13, vcc, 0, v4, vcc
	v_mad_u64_u32 v[3:4], s[4:5], v9, s44, 0
	v_mad_u64_u32 v[5:6], s[4:5], v9, s41, 0
	v_add_co_u32_e32 v3, vcc, v12, v3
	v_addc_co_u32_e32 v3, vcc, v13, v4, vcc
	v_addc_co_u32_e32 v4, vcc, 0, v6, vcc
	v_add_co_u32_e32 v5, vcc, v3, v5
	v_addc_co_u32_e32 v6, vcc, 0, v4, vcc
	v_mul_lo_u32 v12, s43, v5
	v_mul_lo_u32 v13, s42, v6
	v_mad_u64_u32 v[3:4], s[4:5], s42, v5, 0
	v_add3_u32 v4, v4, v13, v12
	v_sub_u32_e32 v12, v9, v4
	v_mov_b32_e32 v13, s43
	v_sub_co_u32_e32 v3, vcc, v8, v3
	v_subb_co_u32_e64 v8, s[4:5], v12, v13, vcc
	v_subrev_co_u32_e64 v12, s[4:5], s42, v3
	v_subbrev_co_u32_e64 v8, s[4:5], 0, v8, s[4:5]
	v_cmp_le_u32_e64 s[4:5], s43, v8
	v_cndmask_b32_e64 v13, 0, -1, s[4:5]
	v_cmp_le_u32_e64 s[4:5], s42, v12
	v_cndmask_b32_e64 v12, 0, -1, s[4:5]
	v_cmp_eq_u32_e64 s[4:5], s43, v8
	v_cndmask_b32_e64 v8, v13, v12, s[4:5]
	v_add_co_u32_e64 v12, s[4:5], 2, v5
	v_subb_co_u32_e32 v4, vcc, v9, v4, vcc
	v_addc_co_u32_e64 v13, s[4:5], 0, v6, s[4:5]
	v_cmp_le_u32_e32 vcc, s43, v4
	v_add_co_u32_e64 v14, s[4:5], 1, v5
	v_cndmask_b32_e64 v9, 0, -1, vcc
	v_cmp_le_u32_e32 vcc, s42, v3
	v_addc_co_u32_e64 v15, s[4:5], 0, v6, s[4:5]
	v_cndmask_b32_e64 v3, 0, -1, vcc
	v_cmp_eq_u32_e32 vcc, s43, v4
	v_cmp_ne_u32_e64 s[4:5], 0, v8
	v_cndmask_b32_e32 v3, v9, v3, vcc
	v_cmp_ne_u32_e32 vcc, 0, v3
	v_cndmask_b32_e64 v4, v14, v12, s[4:5]
	v_cndmask_b32_e64 v8, v15, v13, s[4:5]
	v_cndmask_b32_e32 v4, v5, v4, vcc
	v_xor_b32_e32 v5, s40, v7
	v_cndmask_b32_e32 v3, v6, v8, vcc
	v_xor_b32_e32 v4, v4, v5
	v_xor_b32_e32 v3, v3, v5
	v_sub_co_u32_e32 v4, vcc, v4, v5
	v_subb_co_u32_e32 v5, vcc, v3, v5, vcc
.LBB19_6:                               ;   in Loop: Header=BB19_4 Depth=1
	s_andn2_saveexec_b64 s[4:5], s[6:7]
	s_cbranch_execz .LBB19_8
; %bb.7:                                ;   in Loop: Header=BB19_4 Depth=1
	v_cvt_f32_u32_e32 v3, s24
	s_sub_i32 s6, 0, s24
	v_rcp_iflag_f32_e32 v3, v3
	v_mul_f32_e32 v3, 0x4f7ffffe, v3
	v_cvt_u32_f32_e32 v3, v3
	v_mul_lo_u32 v4, s6, v3
	v_mul_hi_u32 v4, v3, v4
	v_add_u32_e32 v3, v3, v4
	v_mul_hi_u32 v3, v0, v3
	v_mul_lo_u32 v4, v3, s24
	v_add_u32_e32 v5, 1, v3
	v_sub_u32_e32 v4, v0, v4
	v_subrev_u32_e32 v6, s24, v4
	v_cmp_le_u32_e32 vcc, s24, v4
	v_cndmask_b32_e32 v4, v4, v6, vcc
	v_cndmask_b32_e32 v3, v3, v5, vcc
	v_add_u32_e32 v5, 1, v3
	v_cmp_le_u32_e32 vcc, s24, v4
	v_cndmask_b32_e32 v4, v3, v5, vcc
	v_mov_b32_e32 v5, v2
.LBB19_8:                               ;   in Loop: Header=BB19_4 Depth=1
	s_or_b64 exec, exec, s[4:5]
	v_or_b32_e32 v3, s15, v5
	v_cmp_ne_u64_e32 vcc, 0, v[2:3]
                                        ; implicit-def: $vgpr6_vgpr7
	s_and_saveexec_b64 s[4:5], vcc
	s_xor_b64 s[6:7], exec, s[4:5]
	s_cbranch_execz .LBB19_10
; %bb.9:                                ;   in Loop: Header=BB19_4 Depth=1
	s_ashr_i32 s42, s15, 31
	s_add_u32 s4, s14, s42
	s_mov_b32 s43, s42
	s_addc_u32 s5, s15, s42
	s_xor_b64 s[44:45], s[4:5], s[42:43]
	v_cvt_f32_u32_e32 v3, s44
	v_cvt_f32_u32_e32 v6, s45
	s_sub_u32 s41, 0, s44
	s_subb_u32 s43, 0, s45
	v_mac_f32_e32 v3, 0x4f800000, v6
	v_rcp_f32_e32 v3, v3
	v_mul_f32_e32 v3, 0x5f7ffffc, v3
	v_mul_f32_e32 v6, 0x2f800000, v3
	v_trunc_f32_e32 v6, v6
	v_mac_f32_e32 v3, 0xcf800000, v6
	v_cvt_u32_f32_e32 v6, v6
	v_cvt_u32_f32_e32 v3, v3
	v_readfirstlane_b32 s46, v6
	v_readfirstlane_b32 s4, v3
	s_mul_i32 s5, s41, s46
	s_mul_hi_u32 s48, s41, s4
	s_mul_i32 s47, s43, s4
	s_add_i32 s5, s48, s5
	s_add_i32 s5, s5, s47
	s_mul_i32 s49, s41, s4
	s_mul_i32 s48, s4, s5
	s_mul_hi_u32 s56, s4, s49
	s_mul_hi_u32 s47, s4, s5
	s_add_u32 s48, s56, s48
	s_addc_u32 s47, 0, s47
	s_mul_hi_u32 s57, s46, s49
	s_mul_i32 s49, s46, s49
	s_add_u32 s48, s48, s49
	s_mul_hi_u32 s56, s46, s5
	s_addc_u32 s47, s47, s57
	s_addc_u32 s48, s56, 0
	s_mul_i32 s5, s46, s5
	s_add_u32 s5, s47, s5
	s_addc_u32 s47, 0, s48
	s_add_u32 s48, s4, s5
	s_cselect_b64 s[4:5], -1, 0
	s_cmp_lg_u64 s[4:5], 0
	s_addc_u32 s46, s46, s47
	s_mul_i32 s4, s41, s46
	s_mul_hi_u32 s5, s41, s48
	s_add_i32 s4, s5, s4
	s_mul_i32 s43, s43, s48
	s_add_i32 s4, s4, s43
	s_mul_i32 s41, s41, s48
	s_mul_hi_u32 s43, s46, s41
	s_mul_i32 s47, s46, s41
	s_mul_i32 s56, s48, s4
	s_mul_hi_u32 s41, s48, s41
	s_mul_hi_u32 s49, s48, s4
	s_add_u32 s41, s41, s56
	s_addc_u32 s49, 0, s49
	s_add_u32 s41, s41, s47
	s_mul_hi_u32 s5, s46, s4
	s_addc_u32 s41, s49, s43
	s_addc_u32 s5, s5, 0
	s_mul_i32 s4, s46, s4
	s_add_u32 s4, s41, s4
	s_addc_u32 s41, 0, s5
	s_add_u32 s43, s48, s4
	s_cselect_b64 s[4:5], -1, 0
	v_ashrrev_i32_e32 v3, 31, v5
	s_cmp_lg_u64 s[4:5], 0
	v_add_co_u32_e32 v6, vcc, v4, v3
	s_addc_u32 s41, s46, s41
	v_xor_b32_e32 v9, v6, v3
	v_addc_co_u32_e32 v7, vcc, v5, v3, vcc
	v_mad_u64_u32 v[5:6], s[4:5], v9, s41, 0
	v_mul_hi_u32 v8, v9, s43
	v_xor_b32_e32 v12, v7, v3
	v_xor_b32_e32 v3, s42, v3
	v_add_co_u32_e32 v13, vcc, v8, v5
	v_addc_co_u32_e32 v14, vcc, 0, v6, vcc
	v_mad_u64_u32 v[5:6], s[4:5], v12, s43, 0
	v_mad_u64_u32 v[7:8], s[4:5], v12, s41, 0
	v_add_co_u32_e32 v5, vcc, v13, v5
	v_addc_co_u32_e32 v5, vcc, v14, v6, vcc
	v_addc_co_u32_e32 v6, vcc, 0, v8, vcc
	v_add_co_u32_e32 v7, vcc, v5, v7
	v_addc_co_u32_e32 v8, vcc, 0, v6, vcc
	v_mul_lo_u32 v13, s45, v7
	v_mul_lo_u32 v14, s44, v8
	v_mad_u64_u32 v[5:6], s[4:5], s44, v7, 0
	v_add3_u32 v6, v6, v14, v13
	v_sub_u32_e32 v13, v12, v6
	v_mov_b32_e32 v14, s45
	v_sub_co_u32_e32 v5, vcc, v9, v5
	v_subb_co_u32_e64 v9, s[4:5], v13, v14, vcc
	v_subrev_co_u32_e64 v13, s[4:5], s44, v5
	v_subbrev_co_u32_e64 v9, s[4:5], 0, v9, s[4:5]
	v_cmp_le_u32_e64 s[4:5], s45, v9
	v_cndmask_b32_e64 v14, 0, -1, s[4:5]
	v_cmp_le_u32_e64 s[4:5], s44, v13
	v_cndmask_b32_e64 v13, 0, -1, s[4:5]
	v_cmp_eq_u32_e64 s[4:5], s45, v9
	v_cndmask_b32_e64 v9, v14, v13, s[4:5]
	v_add_co_u32_e64 v13, s[4:5], 2, v7
	v_subb_co_u32_e32 v6, vcc, v12, v6, vcc
	v_addc_co_u32_e64 v14, s[4:5], 0, v8, s[4:5]
	v_cmp_le_u32_e32 vcc, s45, v6
	v_add_co_u32_e64 v15, s[4:5], 1, v7
	v_cndmask_b32_e64 v12, 0, -1, vcc
	v_cmp_le_u32_e32 vcc, s44, v5
	v_addc_co_u32_e64 v16, s[4:5], 0, v8, s[4:5]
	v_cndmask_b32_e64 v5, 0, -1, vcc
	v_cmp_eq_u32_e32 vcc, s45, v6
	v_cmp_ne_u32_e64 s[4:5], 0, v9
	v_cndmask_b32_e32 v5, v12, v5, vcc
	v_cmp_ne_u32_e32 vcc, 0, v5
	v_cndmask_b32_e64 v6, v15, v13, s[4:5]
	v_cndmask_b32_e64 v9, v16, v14, s[4:5]
	v_cndmask_b32_e32 v6, v7, v6, vcc
	v_cndmask_b32_e32 v5, v8, v9, vcc
	v_xor_b32_e32 v6, v6, v3
	v_xor_b32_e32 v5, v5, v3
	v_sub_co_u32_e32 v6, vcc, v6, v3
	v_subb_co_u32_e32 v7, vcc, v5, v3, vcc
.LBB19_10:                              ;   in Loop: Header=BB19_4 Depth=1
	s_andn2_saveexec_b64 s[4:5], s[6:7]
	s_cbranch_execz .LBB19_12
; %bb.11:                               ;   in Loop: Header=BB19_4 Depth=1
	v_cvt_f32_u32_e32 v3, s14
	s_sub_i32 s6, 0, s14
	v_rcp_iflag_f32_e32 v3, v3
	v_mul_f32_e32 v3, 0x4f7ffffe, v3
	v_cvt_u32_f32_e32 v3, v3
	v_mul_lo_u32 v5, s6, v3
	v_mul_hi_u32 v5, v3, v5
	v_add_u32_e32 v3, v3, v5
	v_mul_hi_u32 v3, v4, v3
	v_mul_lo_u32 v5, v3, s14
	v_add_u32_e32 v6, 1, v3
	v_sub_u32_e32 v5, v4, v5
	v_subrev_u32_e32 v7, s14, v5
	v_cmp_le_u32_e32 vcc, s14, v5
	v_cndmask_b32_e32 v5, v5, v7, vcc
	v_cndmask_b32_e32 v3, v3, v6, vcc
	v_add_u32_e32 v6, 1, v3
	v_cmp_le_u32_e32 vcc, s14, v5
	v_cndmask_b32_e32 v6, v3, v6, vcc
	v_mov_b32_e32 v7, v2
.LBB19_12:                              ;   in Loop: Header=BB19_4 Depth=1
	s_or_b64 exec, exec, s[4:5]
	v_or_b32_e32 v3, s13, v7
	v_cmp_ne_u64_e32 vcc, 0, v[2:3]
                                        ; implicit-def: $vgpr8_vgpr9
	s_and_saveexec_b64 s[4:5], vcc
	s_xor_b64 s[6:7], exec, s[4:5]
	s_cbranch_execz .LBB19_14
; %bb.13:                               ;   in Loop: Header=BB19_4 Depth=1
	s_ashr_i32 s42, s13, 31
	s_add_u32 s4, s12, s42
	s_mov_b32 s43, s42
	s_addc_u32 s5, s13, s42
	s_xor_b64 s[44:45], s[4:5], s[42:43]
	v_cvt_f32_u32_e32 v3, s44
	v_cvt_f32_u32_e32 v5, s45
	s_sub_u32 s41, 0, s44
	s_subb_u32 s43, 0, s45
	v_mac_f32_e32 v3, 0x4f800000, v5
	v_rcp_f32_e32 v3, v3
	v_mul_f32_e32 v3, 0x5f7ffffc, v3
	v_mul_f32_e32 v5, 0x2f800000, v3
	v_trunc_f32_e32 v5, v5
	v_mac_f32_e32 v3, 0xcf800000, v5
	v_cvt_u32_f32_e32 v5, v5
	v_cvt_u32_f32_e32 v3, v3
	v_readfirstlane_b32 s46, v5
	v_readfirstlane_b32 s4, v3
	s_mul_i32 s5, s41, s46
	s_mul_hi_u32 s48, s41, s4
	s_mul_i32 s47, s43, s4
	s_add_i32 s5, s48, s5
	s_add_i32 s5, s5, s47
	s_mul_i32 s49, s41, s4
	s_mul_i32 s48, s4, s5
	s_mul_hi_u32 s56, s4, s49
	s_mul_hi_u32 s47, s4, s5
	s_add_u32 s48, s56, s48
	s_addc_u32 s47, 0, s47
	s_mul_hi_u32 s57, s46, s49
	s_mul_i32 s49, s46, s49
	s_add_u32 s48, s48, s49
	s_mul_hi_u32 s56, s46, s5
	s_addc_u32 s47, s47, s57
	s_addc_u32 s48, s56, 0
	s_mul_i32 s5, s46, s5
	s_add_u32 s5, s47, s5
	s_addc_u32 s47, 0, s48
	s_add_u32 s48, s4, s5
	s_cselect_b64 s[4:5], -1, 0
	s_cmp_lg_u64 s[4:5], 0
	s_addc_u32 s46, s46, s47
	s_mul_i32 s4, s41, s46
	s_mul_hi_u32 s5, s41, s48
	s_add_i32 s4, s5, s4
	s_mul_i32 s43, s43, s48
	s_add_i32 s4, s4, s43
	s_mul_i32 s41, s41, s48
	s_mul_hi_u32 s43, s46, s41
	s_mul_i32 s47, s46, s41
	s_mul_i32 s56, s48, s4
	s_mul_hi_u32 s41, s48, s41
	s_mul_hi_u32 s49, s48, s4
	s_add_u32 s41, s41, s56
	s_addc_u32 s49, 0, s49
	s_add_u32 s41, s41, s47
	s_mul_hi_u32 s5, s46, s4
	s_addc_u32 s41, s49, s43
	s_addc_u32 s5, s5, 0
	s_mul_i32 s4, s46, s4
	s_add_u32 s4, s41, s4
	s_addc_u32 s41, 0, s5
	s_add_u32 s43, s48, s4
	s_cselect_b64 s[4:5], -1, 0
	v_ashrrev_i32_e32 v3, 31, v7
	s_cmp_lg_u64 s[4:5], 0
	v_add_co_u32_e32 v5, vcc, v6, v3
	s_addc_u32 s41, s46, s41
	v_xor_b32_e32 v5, v5, v3
	v_addc_co_u32_e32 v9, vcc, v7, v3, vcc
	v_mad_u64_u32 v[7:8], s[4:5], v5, s41, 0
	v_mul_hi_u32 v12, v5, s43
	v_xor_b32_e32 v9, v9, v3
	v_xor_b32_e32 v3, s42, v3
	v_add_co_u32_e32 v14, vcc, v12, v7
	v_addc_co_u32_e32 v15, vcc, 0, v8, vcc
	v_mad_u64_u32 v[7:8], s[4:5], v9, s43, 0
	v_mad_u64_u32 v[12:13], s[4:5], v9, s41, 0
	v_add_co_u32_e32 v7, vcc, v14, v7
	v_addc_co_u32_e32 v7, vcc, v15, v8, vcc
	v_addc_co_u32_e32 v8, vcc, 0, v13, vcc
	v_add_co_u32_e32 v12, vcc, v7, v12
	v_addc_co_u32_e32 v7, vcc, 0, v8, vcc
	v_mul_lo_u32 v13, s45, v12
	v_mul_lo_u32 v14, s44, v7
	v_mad_u64_u32 v[7:8], s[4:5], s44, v12, 0
	v_add3_u32 v8, v8, v14, v13
	v_sub_u32_e32 v13, v9, v8
	v_mov_b32_e32 v14, s45
	v_sub_co_u32_e32 v5, vcc, v5, v7
	v_subb_co_u32_e64 v7, s[4:5], v13, v14, vcc
	v_subrev_co_u32_e64 v13, s[4:5], s44, v5
	v_subbrev_co_u32_e64 v7, s[4:5], 0, v7, s[4:5]
	v_cmp_le_u32_e64 s[4:5], s45, v7
	v_subb_co_u32_e32 v8, vcc, v9, v8, vcc
	v_cndmask_b32_e64 v14, 0, -1, s[4:5]
	v_cmp_le_u32_e64 s[4:5], s44, v13
	v_cmp_le_u32_e32 vcc, s45, v8
	v_cndmask_b32_e64 v13, 0, -1, s[4:5]
	v_cmp_eq_u32_e64 s[4:5], s45, v7
	v_cndmask_b32_e64 v9, 0, -1, vcc
	v_cmp_le_u32_e32 vcc, s44, v5
	v_cndmask_b32_e64 v7, v14, v13, s[4:5]
	v_cndmask_b32_e64 v5, 0, -1, vcc
	v_cmp_eq_u32_e32 vcc, s45, v8
	v_add_co_u32_e64 v13, s[4:5], 2, v12
	v_add_co_u32_e64 v14, s[4:5], 1, v12
	v_cndmask_b32_e32 v5, v9, v5, vcc
	v_cmp_ne_u32_e32 vcc, 0, v7
	v_cndmask_b32_e32 v7, v14, v13, vcc
	v_cmp_ne_u32_e32 vcc, 0, v5
	v_cndmask_b32_e32 v5, v12, v7, vcc
	v_xor_b32_e32 v5, v5, v3
	v_sub_co_u32_e32 v8, vcc, v5, v3
.LBB19_14:                              ;   in Loop: Header=BB19_4 Depth=1
	s_andn2_saveexec_b64 s[4:5], s[6:7]
	s_cbranch_execz .LBB19_16
; %bb.15:                               ;   in Loop: Header=BB19_4 Depth=1
	v_cvt_f32_u32_e32 v3, s12
	s_sub_i32 s6, 0, s12
	v_rcp_iflag_f32_e32 v3, v3
	v_mul_f32_e32 v3, 0x4f7ffffe, v3
	v_cvt_u32_f32_e32 v3, v3
	v_mul_lo_u32 v5, s6, v3
	v_mul_hi_u32 v5, v3, v5
	v_add_u32_e32 v3, v3, v5
	v_mul_hi_u32 v3, v6, v3
	v_mul_lo_u32 v5, v3, s12
	v_add_u32_e32 v7, 1, v3
	v_sub_u32_e32 v5, v6, v5
	v_subrev_u32_e32 v8, s12, v5
	v_cmp_le_u32_e32 vcc, s12, v5
	v_cndmask_b32_e32 v5, v5, v8, vcc
	v_cndmask_b32_e32 v3, v3, v7, vcc
	v_add_u32_e32 v7, 1, v3
	v_cmp_le_u32_e32 vcc, s12, v5
	v_cndmask_b32_e32 v8, v3, v7, vcc
.LBB19_16:                              ;   in Loop: Header=BB19_4 Depth=1
	s_or_b64 exec, exec, s[4:5]
	v_mul_lo_u32 v5, v6, s14
	v_mov_b32_e32 v3, 0
	v_sub_u32_e32 v5, v4, v5
	v_add_u32_e32 v7, s20, v5
	v_cmp_le_i32_e32 vcc, s16, v7
	v_mov_b32_e32 v5, 0
	s_and_saveexec_b64 s[4:5], vcc
	s_cbranch_execz .LBB19_18
; %bb.17:                               ;   in Loop: Header=BB19_4 Depth=1
	v_subrev_u32_e32 v5, s16, v7
	v_mul_hi_u32 v9, v5, v10
	v_mul_lo_u32 v12, v9, s33
	v_add_u32_e32 v13, 1, v9
	v_sub_u32_e32 v5, v5, v12
	v_cmp_le_u32_e32 vcc, s33, v5
	v_subrev_u32_e32 v12, s33, v5
	v_cndmask_b32_e32 v9, v9, v13, vcc
	v_cndmask_b32_e32 v5, v5, v12, vcc
	v_add_u32_e32 v12, 1, v9
	v_cmp_le_u32_e32 vcc, s33, v5
	v_cndmask_b32_e32 v5, v9, v12, vcc
	v_xor_b32_e32 v5, s53, v5
	v_subrev_u32_e32 v5, s53, v5
	v_add_u32_e32 v5, 1, v5
.LBB19_18:                              ;   in Loop: Header=BB19_4 Depth=1
	s_or_b64 exec, exec, s[4:5]
	v_mul_lo_u32 v4, v4, s24
	v_sub_u32_e32 v4, v0, v4
	v_add_u32_e32 v4, s21, v4
	v_cmp_le_i32_e32 vcc, s17, v4
	s_and_saveexec_b64 s[4:5], vcc
	s_cbranch_execz .LBB19_20
; %bb.19:                               ;   in Loop: Header=BB19_4 Depth=1
	v_subrev_u32_e32 v3, s17, v4
	v_mul_hi_u32 v9, v3, v11
	v_mul_lo_u32 v12, v9, s35
	v_add_u32_e32 v13, 1, v9
	v_sub_u32_e32 v3, v3, v12
	v_cmp_le_u32_e32 vcc, s35, v3
	v_subrev_u32_e32 v12, s35, v3
	v_cndmask_b32_e32 v9, v9, v13, vcc
	v_cndmask_b32_e32 v3, v3, v12, vcc
	v_add_u32_e32 v12, 1, v9
	v_cmp_le_u32_e32 vcc, s35, v3
	v_cndmask_b32_e32 v3, v9, v12, vcc
	v_xor_b32_e32 v3, s54, v3
	v_subrev_u32_e32 v3, s54, v3
	v_add_u32_e32 v3, 1, v3
.LBB19_20:                              ;   in Loop: Header=BB19_4 Depth=1
	s_or_b64 exec, exec, s[4:5]
	v_sub_u32_e32 v9, 0, v7
	v_max_i32_e32 v9, v7, v9
	v_mul_hi_u32 v12, v9, v10
	v_ashrrev_i32_e32 v7, 31, v7
	v_xor_b32_e32 v7, s53, v7
	v_mul_lo_u32 v13, v12, s33
	v_add_u32_e32 v14, 1, v12
	v_sub_u32_e32 v9, v9, v13
	v_cmp_le_u32_e32 vcc, s33, v9
	v_subrev_u32_e32 v13, s33, v9
	v_cndmask_b32_e32 v12, v12, v14, vcc
	v_cndmask_b32_e32 v9, v9, v13, vcc
	v_add_u32_e32 v13, 1, v12
	v_cmp_le_u32_e32 vcc, s33, v9
	v_cndmask_b32_e32 v9, v12, v13, vcc
	v_xor_b32_e32 v9, v9, v7
	v_sub_u32_e32 v7, v9, v7
	v_add_u32_e32 v7, 1, v7
	v_min_i32_e32 v12, s26, v7
	v_cmp_lt_i32_e32 vcc, v5, v12
	v_mov_b32_e32 v7, 0
	s_and_saveexec_b64 s[42:43], vcc
	s_cbranch_execz .LBB19_3
; %bb.21:                               ;   in Loop: Header=BB19_4 Depth=1
	v_sub_u32_e32 v7, 0, v4
	v_max_i32_e32 v7, v4, v7
	v_mul_hi_u32 v9, v7, v11
	v_mul_lo_u32 v13, v8, s12
	v_ashrrev_i32_e32 v16, 31, v8
	v_ashrrev_i32_e32 v4, 31, v4
	v_mul_lo_u32 v14, v9, s35
	v_sub_u32_e32 v6, v6, v13
	v_add_u32_e32 v13, 1, v9
	v_xor_b32_e32 v4, s54, v4
	v_sub_u32_e32 v15, v7, v14
	v_cmp_le_u32_e32 vcc, s35, v15
	v_ashrrev_i32_e32 v7, 31, v6
	v_cndmask_b32_e32 v9, v9, v13, vcc
	v_mad_u64_u32 v[13:14], s[4:5], v8, s12, v[6:7]
	v_mul_lo_u32 v6, v8, s13
	v_mul_lo_u32 v7, v16, s12
	v_subrev_u32_e32 v8, s35, v15
	v_cndmask_b32_e32 v8, v15, v8, vcc
	v_add_u32_e32 v15, 1, v9
	v_add3_u32 v14, v7, v14, v6
	v_ashrrev_i32_e32 v6, 31, v5
	v_lshlrev_b64 v[6:7], 1, v[5:6]
	v_mul_lo_u32 v16, s31, v13
	v_mul_lo_u32 v14, s30, v14
	v_mad_u64_u32 v[6:7], s[4:5], s30, v13, v[6:7]
	v_cmp_le_u32_e32 vcc, s35, v8
	v_cndmask_b32_e32 v8, v9, v15, vcc
	v_xor_b32_e32 v8, v8, v4
	v_sub_u32_e32 v9, v8, v4
	v_ashrrev_i32_e32 v4, 31, v3
	v_add3_u32 v13, v16, v7, v14
	v_lshlrev_b64 v[7:8], 1, v[3:4]
	v_mul_lo_u32 v13, s28, v13
	v_mul_lo_u32 v14, s29, v6
	v_mad_u64_u32 v[6:7], s[4:5], s28, v6, v[7:8]
	v_add_u32_e32 v4, 1, v9
	v_mul_lo_u32 v9, s19, v3
	v_min_i32_e32 v4, s28, v4
	v_add3_u32 v7, v14, v7, v13
	v_mov_b32_e32 v8, s11
	v_add_co_u32_e64 v6, s[4:5], s10, v6
	v_cmp_lt_i32_e32 vcc, v3, v4
	v_addc_co_u32_e64 v7, s[4:5], v8, v7, s[4:5]
	v_add_u32_e32 v13, s27, v9
	v_add_u32_e32 v15, s55, v9
	v_sub_u32_e32 v16, s21, v9
	v_mov_b32_e32 v14, 0
	s_mov_b64 s[44:45], 0
	s_branch .LBB19_24
.LBB19_22:                              ;   in Loop: Header=BB19_24 Depth=2
	s_or_b64 exec, exec, s[48:49]
.LBB19_23:                              ;   in Loop: Header=BB19_24 Depth=2
	s_or_b64 exec, exec, s[46:47]
	v_add_u32_e32 v5, 1, v5
	v_cmp_ge_i32_e64 s[4:5], v5, v12
	v_mov_b32_e32 v8, s37
	s_or_b64 s[44:45], s[4:5], s[44:45]
	v_add_co_u32_e64 v6, s[4:5], s36, v6
	v_addc_co_u32_e64 v7, s[4:5], v7, v8, s[4:5]
	s_andn2_b64 exec, exec, s[44:45]
	s_cbranch_execz .LBB19_2
.LBB19_24:                              ;   Parent Loop BB19_4 Depth=1
                                        ; =>  This Loop Header: Depth=2
                                        ;       Child Loop BB19_27 Depth 3
	s_and_saveexec_b64 s[46:47], vcc
	s_cbranch_execz .LBB19_23
; %bb.25:                               ;   in Loop: Header=BB19_24 Depth=2
	v_mul_lo_u32 v8, v5, s18
	s_mov_b64 s[48:49], 0
	v_mov_b32_e32 v20, v15
	v_mov_b32_e32 v21, v13
	v_subrev_u32_e32 v8, s20, v8
	v_add_u32_e32 v9, s16, v8
	v_min_i32_e32 v9, s51, v9
	v_max_i32_e32 v18, 0, v8
	v_min_i32_e32 v19, s14, v9
	v_sub_u32_e32 v17, v9, v8
	v_mov_b32_e32 v9, v7
	v_cmp_gt_i32_e64 s[4:5], v19, v18
	v_sub_u32_e32 v18, v19, v18
	v_mov_b32_e32 v19, v16
	v_mov_b32_e32 v8, v6
	;; [unrolled: 1-line block ×3, first 2 shown]
	s_branch .LBB19_27
.LBB19_26:                              ;   in Loop: Header=BB19_27 Depth=3
	s_or_b64 exec, exec, s[6:7]
	v_add_co_u32_e64 v8, s[6:7], 2, v8
	v_add_u32_e32 v22, 1, v22
	v_addc_co_u32_e64 v9, s[6:7], 0, v9, s[6:7]
	v_cmp_ge_i32_e64 s[6:7], v22, v4
	v_add_u32_e32 v21, s19, v21
	v_add_u32_e32 v20, s19, v20
	s_or_b64 s[48:49], s[6:7], s[48:49]
	v_subrev_u32_e32 v19, s19, v19
	s_andn2_b64 exec, exec, s[48:49]
	s_cbranch_execz .LBB19_22
.LBB19_27:                              ;   Parent Loop BB19_4 Depth=1
                                        ;     Parent Loop BB19_24 Depth=2
                                        ; =>    This Inner Loop Header: Depth=3
	v_add_u32_e32 v24, s17, v21
	v_mov_b32_e32 v25, s24
	v_max_i32_e32 v23, 0, v21
	v_min3_i32 v24, v24, s52, v25
	v_cmp_gt_i32_e64 s[6:7], v24, v23
	s_and_b64 s[56:57], s[4:5], s[6:7]
	s_and_saveexec_b64 s[6:7], s[56:57]
	s_cbranch_execz .LBB19_26
; %bb.28:                               ;   in Loop: Header=BB19_27 Depth=3
	global_load_ushort v25, v[8:9], off
	v_min_i32_e32 v26, s52, v20
	v_add_u32_e32 v26, v26, v19
	v_sub_u32_e32 v23, v24, v23
	v_mul_lo_u32 v26, v26, v17
	v_mul_lo_u32 v23, v23, v18
	v_mov_b32_e32 v24, s34
	v_cndmask_b32_e64 v23, v23, v26, s[0:1]
	v_cndmask_b32_e64 v23, v23, v24, s[2:3]
	v_cvt_f32_i32_e32 v23, v23
	v_cvt_f16_f32_e32 v23, v23
	v_cvt_f32_f16_e32 v24, v23
	v_rcp_f32_e32 v26, v24
	s_waitcnt vmcnt(0)
	v_cvt_f32_f16_e32 v27, v25
	v_mul_f32_e32 v28, v27, v26
	v_mad_f32 v29, -v24, v28, v27
	v_mac_f32_e32 v28, v29, v26
	v_mad_f32 v24, -v24, v28, v27
	v_mul_f32_e32 v24, v24, v26
	v_and_b32_e32 v24, 0xff800000, v24
	v_add_f32_e32 v24, v24, v28
	v_cvt_f16_f32_e32 v24, v24
	v_div_fixup_f16 v23, v24, v23, v25
	v_cvt_f32_f16_e32 v23, v23
	v_add_f32_e32 v14, v14, v23
	s_branch .LBB19_26
.LBB19_29:
	s_endpgm
	.section	.rodata,"a",@progbits
	.p2align	6, 0x0
	.amdhsa_kernel _ZN2at6native12_GLOBAL__N_134avg_pool2d_backward_out_cuda_frameIN3c104HalfEflEEvT1_PKT_llllliiiiiiPS6_ibb
		.amdhsa_group_segment_fixed_size 0
		.amdhsa_private_segment_fixed_size 0
		.amdhsa_kernarg_size 352
		.amdhsa_user_sgpr_count 6
		.amdhsa_user_sgpr_private_segment_buffer 1
		.amdhsa_user_sgpr_dispatch_ptr 0
		.amdhsa_user_sgpr_queue_ptr 0
		.amdhsa_user_sgpr_kernarg_segment_ptr 1
		.amdhsa_user_sgpr_dispatch_id 0
		.amdhsa_user_sgpr_flat_scratch_init 0
		.amdhsa_user_sgpr_private_segment_size 0
		.amdhsa_uses_dynamic_stack 0
		.amdhsa_system_sgpr_private_segment_wavefront_offset 0
		.amdhsa_system_sgpr_workgroup_id_x 1
		.amdhsa_system_sgpr_workgroup_id_y 0
		.amdhsa_system_sgpr_workgroup_id_z 0
		.amdhsa_system_sgpr_workgroup_info 0
		.amdhsa_system_vgpr_workitem_id 0
		.amdhsa_next_free_vgpr 30
		.amdhsa_next_free_sgpr 58
		.amdhsa_reserve_vcc 1
		.amdhsa_reserve_flat_scratch 0
		.amdhsa_float_round_mode_32 0
		.amdhsa_float_round_mode_16_64 0
		.amdhsa_float_denorm_mode_32 3
		.amdhsa_float_denorm_mode_16_64 3
		.amdhsa_dx10_clamp 1
		.amdhsa_ieee_mode 1
		.amdhsa_fp16_overflow 0
		.amdhsa_exception_fp_ieee_invalid_op 0
		.amdhsa_exception_fp_denorm_src 0
		.amdhsa_exception_fp_ieee_div_zero 0
		.amdhsa_exception_fp_ieee_overflow 0
		.amdhsa_exception_fp_ieee_underflow 0
		.amdhsa_exception_fp_ieee_inexact 0
		.amdhsa_exception_int_div_zero 0
	.end_amdhsa_kernel
	.section	.text._ZN2at6native12_GLOBAL__N_134avg_pool2d_backward_out_cuda_frameIN3c104HalfEflEEvT1_PKT_llllliiiiiiPS6_ibb,"axG",@progbits,_ZN2at6native12_GLOBAL__N_134avg_pool2d_backward_out_cuda_frameIN3c104HalfEflEEvT1_PKT_llllliiiiiiPS6_ibb,comdat
.Lfunc_end19:
	.size	_ZN2at6native12_GLOBAL__N_134avg_pool2d_backward_out_cuda_frameIN3c104HalfEflEEvT1_PKT_llllliiiiiiPS6_ibb, .Lfunc_end19-_ZN2at6native12_GLOBAL__N_134avg_pool2d_backward_out_cuda_frameIN3c104HalfEflEEvT1_PKT_llllliiiiiiPS6_ibb
                                        ; -- End function
	.set _ZN2at6native12_GLOBAL__N_134avg_pool2d_backward_out_cuda_frameIN3c104HalfEflEEvT1_PKT_llllliiiiiiPS6_ibb.num_vgpr, 30
	.set _ZN2at6native12_GLOBAL__N_134avg_pool2d_backward_out_cuda_frameIN3c104HalfEflEEvT1_PKT_llllliiiiiiPS6_ibb.num_agpr, 0
	.set _ZN2at6native12_GLOBAL__N_134avg_pool2d_backward_out_cuda_frameIN3c104HalfEflEEvT1_PKT_llllliiiiiiPS6_ibb.numbered_sgpr, 58
	.set _ZN2at6native12_GLOBAL__N_134avg_pool2d_backward_out_cuda_frameIN3c104HalfEflEEvT1_PKT_llllliiiiiiPS6_ibb.num_named_barrier, 0
	.set _ZN2at6native12_GLOBAL__N_134avg_pool2d_backward_out_cuda_frameIN3c104HalfEflEEvT1_PKT_llllliiiiiiPS6_ibb.private_seg_size, 0
	.set _ZN2at6native12_GLOBAL__N_134avg_pool2d_backward_out_cuda_frameIN3c104HalfEflEEvT1_PKT_llllliiiiiiPS6_ibb.uses_vcc, 1
	.set _ZN2at6native12_GLOBAL__N_134avg_pool2d_backward_out_cuda_frameIN3c104HalfEflEEvT1_PKT_llllliiiiiiPS6_ibb.uses_flat_scratch, 0
	.set _ZN2at6native12_GLOBAL__N_134avg_pool2d_backward_out_cuda_frameIN3c104HalfEflEEvT1_PKT_llllliiiiiiPS6_ibb.has_dyn_sized_stack, 0
	.set _ZN2at6native12_GLOBAL__N_134avg_pool2d_backward_out_cuda_frameIN3c104HalfEflEEvT1_PKT_llllliiiiiiPS6_ibb.has_recursion, 0
	.set _ZN2at6native12_GLOBAL__N_134avg_pool2d_backward_out_cuda_frameIN3c104HalfEflEEvT1_PKT_llllliiiiiiPS6_ibb.has_indirect_call, 0
	.section	.AMDGPU.csdata,"",@progbits
; Kernel info:
; codeLenInByte = 3472
; TotalNumSgprs: 62
; NumVgprs: 30
; ScratchSize: 0
; MemoryBound: 0
; FloatMode: 240
; IeeeMode: 1
; LDSByteSize: 0 bytes/workgroup (compile time only)
; SGPRBlocks: 7
; VGPRBlocks: 7
; NumSGPRsForWavesPerEU: 62
; NumVGPRsForWavesPerEU: 30
; Occupancy: 8
; WaveLimiterHint : 0
; COMPUTE_PGM_RSRC2:SCRATCH_EN: 0
; COMPUTE_PGM_RSRC2:USER_SGPR: 6
; COMPUTE_PGM_RSRC2:TRAP_HANDLER: 0
; COMPUTE_PGM_RSRC2:TGID_X_EN: 1
; COMPUTE_PGM_RSRC2:TGID_Y_EN: 0
; COMPUTE_PGM_RSRC2:TGID_Z_EN: 0
; COMPUTE_PGM_RSRC2:TIDIG_COMP_CNT: 0
	.section	.text._ZN2at6native12_GLOBAL__N_139avg_pool2d_backward_out_cuda_frame_nhwcIN3c108BFloat16EfiEEvT1_PKT_llliiiiiiiiPS6_ibb,"axG",@progbits,_ZN2at6native12_GLOBAL__N_139avg_pool2d_backward_out_cuda_frame_nhwcIN3c108BFloat16EfiEEvT1_PKT_llliiiiiiiiPS6_ibb,comdat
	.globl	_ZN2at6native12_GLOBAL__N_139avg_pool2d_backward_out_cuda_frame_nhwcIN3c108BFloat16EfiEEvT1_PKT_llliiiiiiiiPS6_ibb ; -- Begin function _ZN2at6native12_GLOBAL__N_139avg_pool2d_backward_out_cuda_frame_nhwcIN3c108BFloat16EfiEEvT1_PKT_llliiiiiiiiPS6_ibb
	.p2align	8
	.type	_ZN2at6native12_GLOBAL__N_139avg_pool2d_backward_out_cuda_frame_nhwcIN3c108BFloat16EfiEEvT1_PKT_llliiiiiiiiPS6_ibb,@function
_ZN2at6native12_GLOBAL__N_139avg_pool2d_backward_out_cuda_frame_nhwcIN3c108BFloat16EfiEEvT1_PKT_llliiiiiiiiPS6_ibb: ; @_ZN2at6native12_GLOBAL__N_139avg_pool2d_backward_out_cuda_frame_nhwcIN3c108BFloat16EfiEEvT1_PKT_llliiiiiiiiPS6_ibb
; %bb.0:
	s_load_dword s28, s[4:5], 0x0
	s_load_dword s0, s[4:5], 0x64
	v_mov_b32_e32 v2, 0
	v_mov_b32_e32 v1, v2
	v_mov_b32_e32 v3, s6
	s_waitcnt lgkmcnt(0)
	s_ashr_i32 s29, s28, 31
	s_add_u32 s30, s4, 0x58
	s_addc_u32 s31, s5, 0
	s_and_b32 s7, s0, 0xffff
	v_mad_u64_u32 v[0:1], s[0:1], s7, v3, v[0:1]
	v_cmp_gt_i64_e32 vcc, s[28:29], v[0:1]
	s_and_saveexec_b64 s[0:1], vcc
	s_cbranch_execz .LBB20_29
; %bb.1:
	s_load_dwordx4 s[24:27], s[4:5], 0x48
	s_load_dword s2, s[4:5], 0x54
	s_load_dwordx8 s[8:15], s[4:5], 0x8
	s_load_dwordx8 s[16:23], s[4:5], 0x28
	s_movk_i32 s55, 0x7fff
	s_waitcnt lgkmcnt(0)
	s_bitcmp1_b32 s27, 0
	s_cselect_b64 s[0:1], -1, 0
	s_bitcmp1_b32 s2, 8
	s_cselect_b64 s[2:3], -1, 0
	s_ashr_i32 s5, s16, 31
	s_mul_hi_u32 s27, s10, s16
	s_mul_i32 s5, s10, s5
	s_load_dword s4, s[30:31], 0x0
	s_ashr_i32 s6, s17, 31
	s_add_i32 s5, s27, s5
	s_mul_i32 s27, s11, s16
	s_mul_i32 s30, s10, s16
	s_add_i32 s5, s5, s27
	s_mul_i32 s6, s30, s6
	s_mul_hi_u32 s27, s30, s17
	s_add_i32 s6, s27, s6
	s_abs_i32 s27, s20
	v_cvt_f32_u32_e32 v3, s27
	s_abs_i32 s33, s21
	v_cvt_f32_u32_e32 v4, s33
	s_mul_i32 s5, s5, s17
	v_rcp_iflag_f32_e32 v3, v3
	s_add_i32 s46, s6, s5
	v_rcp_iflag_f32_e32 v4, v4
	s_sub_i32 s5, 0, s27
	v_mul_f32_e32 v3, 0x4f7ffffe, v3
	v_cvt_u32_f32_e32 v3, v3
	v_mul_f32_e32 v4, 0x4f7ffffe, v4
	v_cvt_u32_f32_e32 v4, v4
	s_mul_i32 s47, s30, s17
	v_mul_lo_u32 v5, s5, v3
	s_sub_i32 s5, 0, s33
	v_mul_lo_u32 v6, s5, v4
	s_add_i32 s48, s22, s12
	v_mul_hi_u32 v5, v3, v5
	s_add_i32 s49, s23, s14
	v_mul_hi_u32 v6, v4, v6
	s_waitcnt lgkmcnt(0)
	s_mul_i32 s50, s4, s7
	s_ashr_i32 s51, s20, 31
	v_add_u32_e32 v10, v3, v5
	s_ashr_i32 s52, s21, 31
	v_add_u32_e32 v11, v4, v6
	s_sub_i32 s53, 0, s23
	s_sub_i32 s54, s19, s23
	s_mov_b64 s[30:31], 0
	s_ashr_i32 s34, s11, 31
	v_mov_b32_e32 v12, 0x7fc00000
	v_mov_b32_e32 v13, 0x7fc0
	s_branch .LBB20_4
.LBB20_2:                               ;   in Loop: Header=BB20_4 Depth=1
	s_or_b64 exec, exec, s[38:39]
.LBB20_3:                               ;   in Loop: Header=BB20_4 Depth=1
	s_or_b64 exec, exec, s[36:37]
	v_bfe_u32 v3, v14, 16, 1
	v_add3_u32 v3, v14, v3, s55
	v_cmp_o_f32_e32 vcc, v14, v14
	v_cndmask_b32_sdwa v5, v13, v3, vcc dst_sel:DWORD dst_unused:UNUSED_PAD src0_sel:DWORD src1_sel:WORD_1
	v_lshlrev_b64 v[3:4], 1, v[0:1]
	v_add_co_u32_e32 v0, vcc, s50, v0
	v_addc_co_u32_e32 v1, vcc, 0, v1, vcc
	v_cmp_le_i64_e32 vcc, s[28:29], v[0:1]
	v_mov_b32_e32 v6, s25
	v_add_co_u32_e64 v3, s[4:5], s24, v3
	v_addc_co_u32_e64 v4, s[4:5], v6, v4, s[4:5]
	s_or_b64 s[30:31], vcc, s[30:31]
	global_store_short v[3:4], v5, off
	s_andn2_b64 exec, exec, s[30:31]
	s_cbranch_execz .LBB20_29
.LBB20_4:                               ; =>This Loop Header: Depth=1
                                        ;     Child Loop BB20_24 Depth 2
                                        ;       Child Loop BB20_27 Depth 3
	v_or_b32_e32 v3, s11, v1
	v_cmp_ne_u64_e32 vcc, 0, v[2:3]
                                        ; implicit-def: $vgpr4_vgpr5
	s_and_saveexec_b64 s[4:5], vcc
	s_xor_b64 s[6:7], exec, s[4:5]
	s_cbranch_execz .LBB20_6
; %bb.5:                                ;   in Loop: Header=BB20_4 Depth=1
	s_add_u32 s4, s10, s34
	s_mov_b32 s35, s34
	s_addc_u32 s5, s11, s34
	s_xor_b64 s[36:37], s[4:5], s[34:35]
	v_cvt_f32_u32_e32 v3, s36
	v_cvt_f32_u32_e32 v4, s37
	s_sub_u32 s35, 0, s36
	s_subb_u32 s38, 0, s37
	v_ashrrev_i32_e32 v7, 31, v1
	v_mac_f32_e32 v3, 0x4f800000, v4
	v_rcp_f32_e32 v3, v3
	v_mul_f32_e32 v3, 0x5f7ffffc, v3
	v_mul_f32_e32 v4, 0x2f800000, v3
	v_trunc_f32_e32 v4, v4
	v_mac_f32_e32 v3, 0xcf800000, v4
	v_cvt_u32_f32_e32 v4, v4
	v_cvt_u32_f32_e32 v3, v3
	v_readfirstlane_b32 s39, v4
	v_readfirstlane_b32 s4, v3
	s_mul_i32 s5, s35, s39
	s_mul_hi_u32 s41, s35, s4
	s_mul_i32 s40, s38, s4
	s_add_i32 s5, s41, s5
	s_add_i32 s5, s5, s40
	s_mul_i32 s42, s35, s4
	s_mul_i32 s41, s4, s5
	s_mul_hi_u32 s43, s4, s42
	s_mul_hi_u32 s40, s4, s5
	s_add_u32 s41, s43, s41
	s_addc_u32 s40, 0, s40
	s_mul_hi_u32 s44, s39, s42
	s_mul_i32 s42, s39, s42
	s_add_u32 s41, s41, s42
	s_mul_hi_u32 s43, s39, s5
	s_addc_u32 s40, s40, s44
	s_addc_u32 s41, s43, 0
	s_mul_i32 s5, s39, s5
	s_add_u32 s5, s40, s5
	s_addc_u32 s40, 0, s41
	s_add_u32 s41, s4, s5
	s_cselect_b64 s[4:5], -1, 0
	s_cmp_lg_u64 s[4:5], 0
	s_addc_u32 s39, s39, s40
	s_mul_i32 s4, s35, s39
	s_mul_hi_u32 s5, s35, s41
	s_add_i32 s4, s5, s4
	s_mul_i32 s38, s38, s41
	s_add_i32 s4, s4, s38
	s_mul_i32 s35, s35, s41
	s_mul_hi_u32 s38, s39, s35
	s_mul_i32 s40, s39, s35
	s_mul_i32 s43, s41, s4
	s_mul_hi_u32 s35, s41, s35
	s_mul_hi_u32 s42, s41, s4
	s_add_u32 s35, s35, s43
	s_addc_u32 s42, 0, s42
	s_add_u32 s35, s35, s40
	s_mul_hi_u32 s5, s39, s4
	s_addc_u32 s35, s42, s38
	s_addc_u32 s5, s5, 0
	s_mul_i32 s4, s39, s4
	s_add_u32 s4, s35, s4
	s_addc_u32 s35, 0, s5
	s_add_u32 s38, s41, s4
	s_cselect_b64 s[4:5], -1, 0
	s_cmp_lg_u64 s[4:5], 0
	v_add_co_u32_e32 v3, vcc, v0, v7
	s_addc_u32 s35, s39, s35
	v_xor_b32_e32 v8, v3, v7
	v_mad_u64_u32 v[3:4], s[4:5], v8, s35, 0
	v_mul_hi_u32 v6, v8, s38
	v_addc_co_u32_e32 v5, vcc, v1, v7, vcc
	v_xor_b32_e32 v9, v5, v7
	v_add_co_u32_e32 v14, vcc, v6, v3
	v_addc_co_u32_e32 v15, vcc, 0, v4, vcc
	v_mad_u64_u32 v[3:4], s[4:5], v9, s38, 0
	v_mad_u64_u32 v[5:6], s[4:5], v9, s35, 0
	v_add_co_u32_e32 v3, vcc, v14, v3
	v_addc_co_u32_e32 v3, vcc, v15, v4, vcc
	v_addc_co_u32_e32 v4, vcc, 0, v6, vcc
	v_add_co_u32_e32 v5, vcc, v3, v5
	v_addc_co_u32_e32 v6, vcc, 0, v4, vcc
	v_mul_lo_u32 v14, s37, v5
	v_mul_lo_u32 v15, s36, v6
	v_mad_u64_u32 v[3:4], s[4:5], s36, v5, 0
	v_add3_u32 v4, v4, v15, v14
	v_sub_u32_e32 v14, v9, v4
	v_mov_b32_e32 v15, s37
	v_sub_co_u32_e32 v3, vcc, v8, v3
	v_subb_co_u32_e64 v8, s[4:5], v14, v15, vcc
	v_subrev_co_u32_e64 v14, s[4:5], s36, v3
	v_subbrev_co_u32_e64 v8, s[4:5], 0, v8, s[4:5]
	v_cmp_le_u32_e64 s[4:5], s37, v8
	v_cndmask_b32_e64 v15, 0, -1, s[4:5]
	v_cmp_le_u32_e64 s[4:5], s36, v14
	v_cndmask_b32_e64 v14, 0, -1, s[4:5]
	v_cmp_eq_u32_e64 s[4:5], s37, v8
	v_cndmask_b32_e64 v8, v15, v14, s[4:5]
	v_add_co_u32_e64 v14, s[4:5], 2, v5
	v_subb_co_u32_e32 v4, vcc, v9, v4, vcc
	v_addc_co_u32_e64 v15, s[4:5], 0, v6, s[4:5]
	v_cmp_le_u32_e32 vcc, s37, v4
	v_add_co_u32_e64 v16, s[4:5], 1, v5
	v_cndmask_b32_e64 v9, 0, -1, vcc
	v_cmp_le_u32_e32 vcc, s36, v3
	v_addc_co_u32_e64 v17, s[4:5], 0, v6, s[4:5]
	v_cndmask_b32_e64 v3, 0, -1, vcc
	v_cmp_eq_u32_e32 vcc, s37, v4
	v_cmp_ne_u32_e64 s[4:5], 0, v8
	v_cndmask_b32_e32 v3, v9, v3, vcc
	v_cmp_ne_u32_e32 vcc, 0, v3
	v_cndmask_b32_e64 v4, v16, v14, s[4:5]
	v_cndmask_b32_e64 v8, v17, v15, s[4:5]
	v_cndmask_b32_e32 v4, v5, v4, vcc
	v_xor_b32_e32 v5, s34, v7
	v_cndmask_b32_e32 v3, v6, v8, vcc
	v_xor_b32_e32 v4, v4, v5
	v_xor_b32_e32 v3, v3, v5
	v_sub_co_u32_e32 v4, vcc, v4, v5
	v_subb_co_u32_e32 v5, vcc, v3, v5, vcc
.LBB20_6:                               ;   in Loop: Header=BB20_4 Depth=1
	s_andn2_saveexec_b64 s[4:5], s[6:7]
	s_cbranch_execz .LBB20_8
; %bb.7:                                ;   in Loop: Header=BB20_4 Depth=1
	v_cvt_f32_u32_e32 v3, s10
	s_sub_i32 s6, 0, s10
	v_rcp_iflag_f32_e32 v3, v3
	v_mul_f32_e32 v3, 0x4f7ffffe, v3
	v_cvt_u32_f32_e32 v3, v3
	v_mul_lo_u32 v4, s6, v3
	v_mul_hi_u32 v4, v3, v4
	v_add_u32_e32 v3, v3, v4
	v_mul_hi_u32 v3, v0, v3
	v_mul_lo_u32 v4, v3, s10
	v_add_u32_e32 v5, 1, v3
	v_sub_u32_e32 v4, v0, v4
	v_subrev_u32_e32 v6, s10, v4
	v_cmp_le_u32_e32 vcc, s10, v4
	v_cndmask_b32_e32 v4, v4, v6, vcc
	v_cndmask_b32_e32 v3, v3, v5, vcc
	v_add_u32_e32 v5, 1, v3
	v_cmp_le_u32_e32 vcc, s10, v4
	v_cndmask_b32_e32 v4, v3, v5, vcc
	v_mov_b32_e32 v5, v2
.LBB20_8:                               ;   in Loop: Header=BB20_4 Depth=1
	s_or_b64 exec, exec, s[4:5]
	v_or_b32_e32 v3, s15, v5
	v_cmp_ne_u64_e32 vcc, 0, v[2:3]
                                        ; implicit-def: $vgpr6_vgpr7
	s_and_saveexec_b64 s[4:5], vcc
	s_xor_b64 s[6:7], exec, s[4:5]
	s_cbranch_execz .LBB20_10
; %bb.9:                                ;   in Loop: Header=BB20_4 Depth=1
	s_ashr_i32 s36, s15, 31
	s_add_u32 s4, s14, s36
	s_mov_b32 s37, s36
	s_addc_u32 s5, s15, s36
	s_xor_b64 s[38:39], s[4:5], s[36:37]
	v_cvt_f32_u32_e32 v3, s38
	v_cvt_f32_u32_e32 v6, s39
	s_sub_u32 s35, 0, s38
	s_subb_u32 s37, 0, s39
	v_mac_f32_e32 v3, 0x4f800000, v6
	v_rcp_f32_e32 v3, v3
	v_mul_f32_e32 v3, 0x5f7ffffc, v3
	v_mul_f32_e32 v6, 0x2f800000, v3
	v_trunc_f32_e32 v6, v6
	v_mac_f32_e32 v3, 0xcf800000, v6
	v_cvt_u32_f32_e32 v6, v6
	v_cvt_u32_f32_e32 v3, v3
	v_readfirstlane_b32 s40, v6
	v_readfirstlane_b32 s4, v3
	s_mul_i32 s5, s35, s40
	s_mul_hi_u32 s42, s35, s4
	s_mul_i32 s41, s37, s4
	s_add_i32 s5, s42, s5
	s_add_i32 s5, s5, s41
	s_mul_i32 s43, s35, s4
	s_mul_i32 s42, s4, s5
	s_mul_hi_u32 s44, s4, s43
	s_mul_hi_u32 s41, s4, s5
	s_add_u32 s42, s44, s42
	s_addc_u32 s41, 0, s41
	s_mul_hi_u32 s45, s40, s43
	s_mul_i32 s43, s40, s43
	s_add_u32 s42, s42, s43
	s_mul_hi_u32 s44, s40, s5
	s_addc_u32 s41, s41, s45
	s_addc_u32 s42, s44, 0
	s_mul_i32 s5, s40, s5
	s_add_u32 s5, s41, s5
	s_addc_u32 s41, 0, s42
	s_add_u32 s42, s4, s5
	s_cselect_b64 s[4:5], -1, 0
	s_cmp_lg_u64 s[4:5], 0
	s_addc_u32 s40, s40, s41
	s_mul_i32 s4, s35, s40
	s_mul_hi_u32 s5, s35, s42
	s_add_i32 s4, s5, s4
	s_mul_i32 s37, s37, s42
	s_add_i32 s4, s4, s37
	s_mul_i32 s35, s35, s42
	s_mul_hi_u32 s37, s40, s35
	s_mul_i32 s41, s40, s35
	s_mul_i32 s44, s42, s4
	s_mul_hi_u32 s35, s42, s35
	s_mul_hi_u32 s43, s42, s4
	s_add_u32 s35, s35, s44
	s_addc_u32 s43, 0, s43
	s_add_u32 s35, s35, s41
	s_mul_hi_u32 s5, s40, s4
	s_addc_u32 s35, s43, s37
	s_addc_u32 s5, s5, 0
	s_mul_i32 s4, s40, s4
	s_add_u32 s4, s35, s4
	s_addc_u32 s35, 0, s5
	s_add_u32 s37, s42, s4
	s_cselect_b64 s[4:5], -1, 0
	v_ashrrev_i32_e32 v3, 31, v5
	s_cmp_lg_u64 s[4:5], 0
	v_add_co_u32_e32 v6, vcc, v4, v3
	s_addc_u32 s35, s40, s35
	v_xor_b32_e32 v14, v6, v3
	v_mad_u64_u32 v[6:7], s[4:5], v14, s35, 0
	v_mul_hi_u32 v9, v14, s37
	v_addc_co_u32_e32 v8, vcc, v5, v3, vcc
	v_xor_b32_e32 v15, v8, v3
	v_add_co_u32_e32 v16, vcc, v9, v6
	v_addc_co_u32_e32 v17, vcc, 0, v7, vcc
	v_mad_u64_u32 v[6:7], s[4:5], v15, s37, 0
	v_mad_u64_u32 v[8:9], s[4:5], v15, s35, 0
	v_add_co_u32_e32 v6, vcc, v16, v6
	v_addc_co_u32_e32 v6, vcc, v17, v7, vcc
	v_addc_co_u32_e32 v7, vcc, 0, v9, vcc
	v_add_co_u32_e32 v8, vcc, v6, v8
	v_addc_co_u32_e32 v9, vcc, 0, v7, vcc
	v_mul_lo_u32 v16, s39, v8
	v_mul_lo_u32 v17, s38, v9
	v_mad_u64_u32 v[6:7], s[4:5], s38, v8, 0
	v_xor_b32_e32 v3, s36, v3
	v_add3_u32 v7, v7, v17, v16
	v_sub_u32_e32 v16, v15, v7
	v_mov_b32_e32 v17, s39
	v_sub_co_u32_e32 v6, vcc, v14, v6
	v_subb_co_u32_e64 v14, s[4:5], v16, v17, vcc
	v_subrev_co_u32_e64 v16, s[4:5], s38, v6
	v_subbrev_co_u32_e64 v14, s[4:5], 0, v14, s[4:5]
	v_cmp_le_u32_e64 s[4:5], s39, v14
	v_cndmask_b32_e64 v17, 0, -1, s[4:5]
	v_cmp_le_u32_e64 s[4:5], s38, v16
	v_cndmask_b32_e64 v16, 0, -1, s[4:5]
	v_cmp_eq_u32_e64 s[4:5], s39, v14
	v_cndmask_b32_e64 v14, v17, v16, s[4:5]
	v_add_co_u32_e64 v16, s[4:5], 2, v8
	v_subb_co_u32_e32 v7, vcc, v15, v7, vcc
	v_addc_co_u32_e64 v17, s[4:5], 0, v9, s[4:5]
	v_cmp_le_u32_e32 vcc, s39, v7
	v_add_co_u32_e64 v18, s[4:5], 1, v8
	v_cndmask_b32_e64 v15, 0, -1, vcc
	v_cmp_le_u32_e32 vcc, s38, v6
	v_addc_co_u32_e64 v19, s[4:5], 0, v9, s[4:5]
	v_cndmask_b32_e64 v6, 0, -1, vcc
	v_cmp_eq_u32_e32 vcc, s39, v7
	v_cmp_ne_u32_e64 s[4:5], 0, v14
	v_cndmask_b32_e32 v6, v15, v6, vcc
	v_cndmask_b32_e64 v14, v19, v17, s[4:5]
	v_cmp_ne_u32_e32 vcc, 0, v6
	v_cndmask_b32_e64 v7, v18, v16, s[4:5]
	v_cndmask_b32_e32 v6, v9, v14, vcc
	v_cndmask_b32_e32 v7, v8, v7, vcc
	v_xor_b32_e32 v8, v6, v3
	v_xor_b32_e32 v6, v7, v3
	v_sub_co_u32_e32 v6, vcc, v6, v3
	v_subb_co_u32_e32 v7, vcc, v8, v3, vcc
.LBB20_10:                              ;   in Loop: Header=BB20_4 Depth=1
	s_andn2_saveexec_b64 s[4:5], s[6:7]
	s_cbranch_execz .LBB20_12
; %bb.11:                               ;   in Loop: Header=BB20_4 Depth=1
	v_cvt_f32_u32_e32 v3, s14
	s_sub_i32 s6, 0, s14
	v_rcp_iflag_f32_e32 v3, v3
	v_mul_f32_e32 v3, 0x4f7ffffe, v3
	v_cvt_u32_f32_e32 v3, v3
	v_mul_lo_u32 v6, s6, v3
	v_mul_hi_u32 v6, v3, v6
	v_add_u32_e32 v3, v3, v6
	v_mul_hi_u32 v3, v4, v3
	v_mul_lo_u32 v6, v3, s14
	v_add_u32_e32 v7, 1, v3
	v_sub_u32_e32 v6, v4, v6
	v_subrev_u32_e32 v8, s14, v6
	v_cmp_le_u32_e32 vcc, s14, v6
	v_cndmask_b32_e32 v6, v6, v8, vcc
	v_cndmask_b32_e32 v3, v3, v7, vcc
	v_add_u32_e32 v7, 1, v3
	v_cmp_le_u32_e32 vcc, s14, v6
	v_cndmask_b32_e32 v6, v3, v7, vcc
	v_mov_b32_e32 v7, v2
.LBB20_12:                              ;   in Loop: Header=BB20_4 Depth=1
	s_or_b64 exec, exec, s[4:5]
	v_or_b32_e32 v3, s13, v7
	v_cmp_ne_u64_e32 vcc, 0, v[2:3]
                                        ; implicit-def: $vgpr8_vgpr9
	s_and_saveexec_b64 s[4:5], vcc
	s_xor_b64 s[6:7], exec, s[4:5]
	s_cbranch_execz .LBB20_14
; %bb.13:                               ;   in Loop: Header=BB20_4 Depth=1
	s_ashr_i32 s36, s13, 31
	s_add_u32 s4, s12, s36
	s_mov_b32 s37, s36
	s_addc_u32 s5, s13, s36
	s_xor_b64 s[38:39], s[4:5], s[36:37]
	v_cvt_f32_u32_e32 v3, s38
	v_cvt_f32_u32_e32 v8, s39
	s_sub_u32 s35, 0, s38
	s_subb_u32 s37, 0, s39
	v_mac_f32_e32 v3, 0x4f800000, v8
	v_rcp_f32_e32 v3, v3
	v_mul_f32_e32 v3, 0x5f7ffffc, v3
	v_mul_f32_e32 v8, 0x2f800000, v3
	v_trunc_f32_e32 v8, v8
	v_mac_f32_e32 v3, 0xcf800000, v8
	v_cvt_u32_f32_e32 v8, v8
	v_cvt_u32_f32_e32 v3, v3
	v_readfirstlane_b32 s40, v8
	v_readfirstlane_b32 s4, v3
	s_mul_i32 s5, s35, s40
	s_mul_hi_u32 s42, s35, s4
	s_mul_i32 s41, s37, s4
	s_add_i32 s5, s42, s5
	s_add_i32 s5, s5, s41
	s_mul_i32 s43, s35, s4
	s_mul_i32 s42, s4, s5
	s_mul_hi_u32 s44, s4, s43
	s_mul_hi_u32 s41, s4, s5
	s_add_u32 s42, s44, s42
	s_addc_u32 s41, 0, s41
	s_mul_hi_u32 s45, s40, s43
	s_mul_i32 s43, s40, s43
	s_add_u32 s42, s42, s43
	s_mul_hi_u32 s44, s40, s5
	s_addc_u32 s41, s41, s45
	s_addc_u32 s42, s44, 0
	s_mul_i32 s5, s40, s5
	s_add_u32 s5, s41, s5
	s_addc_u32 s41, 0, s42
	s_add_u32 s42, s4, s5
	s_cselect_b64 s[4:5], -1, 0
	s_cmp_lg_u64 s[4:5], 0
	s_addc_u32 s40, s40, s41
	s_mul_i32 s4, s35, s40
	s_mul_hi_u32 s5, s35, s42
	s_add_i32 s4, s5, s4
	s_mul_i32 s37, s37, s42
	s_add_i32 s4, s4, s37
	s_mul_i32 s35, s35, s42
	s_mul_hi_u32 s37, s40, s35
	s_mul_i32 s41, s40, s35
	s_mul_i32 s44, s42, s4
	s_mul_hi_u32 s35, s42, s35
	s_mul_hi_u32 s43, s42, s4
	s_add_u32 s35, s35, s44
	s_addc_u32 s43, 0, s43
	s_add_u32 s35, s35, s41
	s_mul_hi_u32 s5, s40, s4
	s_addc_u32 s35, s43, s37
	s_addc_u32 s5, s5, 0
	s_mul_i32 s4, s40, s4
	s_add_u32 s4, s35, s4
	s_addc_u32 s35, 0, s5
	s_add_u32 s37, s42, s4
	s_cselect_b64 s[4:5], -1, 0
	v_ashrrev_i32_e32 v3, 31, v7
	s_cmp_lg_u64 s[4:5], 0
	v_add_co_u32_e32 v8, vcc, v6, v3
	s_addc_u32 s35, s40, s35
	v_xor_b32_e32 v16, v8, v3
	v_addc_co_u32_e32 v9, vcc, v7, v3, vcc
	v_mad_u64_u32 v[7:8], s[4:5], v16, s35, 0
	v_mul_hi_u32 v14, v16, s37
	v_xor_b32_e32 v9, v9, v3
	v_xor_b32_e32 v3, s36, v3
	v_add_co_u32_e32 v17, vcc, v14, v7
	v_addc_co_u32_e32 v18, vcc, 0, v8, vcc
	v_mad_u64_u32 v[7:8], s[4:5], v9, s37, 0
	v_mad_u64_u32 v[14:15], s[4:5], v9, s35, 0
	v_add_co_u32_e32 v7, vcc, v17, v7
	v_addc_co_u32_e32 v7, vcc, v18, v8, vcc
	v_addc_co_u32_e32 v8, vcc, 0, v15, vcc
	v_add_co_u32_e32 v14, vcc, v7, v14
	v_addc_co_u32_e32 v15, vcc, 0, v8, vcc
	v_mul_lo_u32 v17, s39, v14
	v_mul_lo_u32 v18, s38, v15
	v_mad_u64_u32 v[7:8], s[4:5], s38, v14, 0
	v_add3_u32 v8, v8, v18, v17
	v_sub_u32_e32 v17, v9, v8
	v_mov_b32_e32 v18, s39
	v_sub_co_u32_e32 v7, vcc, v16, v7
	v_subb_co_u32_e64 v16, s[4:5], v17, v18, vcc
	v_subrev_co_u32_e64 v17, s[4:5], s38, v7
	v_subbrev_co_u32_e64 v16, s[4:5], 0, v16, s[4:5]
	v_cmp_le_u32_e64 s[4:5], s39, v16
	v_cndmask_b32_e64 v18, 0, -1, s[4:5]
	v_cmp_le_u32_e64 s[4:5], s38, v17
	v_cndmask_b32_e64 v17, 0, -1, s[4:5]
	v_cmp_eq_u32_e64 s[4:5], s39, v16
	v_cndmask_b32_e64 v16, v18, v17, s[4:5]
	v_add_co_u32_e64 v17, s[4:5], 2, v14
	v_subb_co_u32_e32 v8, vcc, v9, v8, vcc
	v_addc_co_u32_e64 v18, s[4:5], 0, v15, s[4:5]
	v_cmp_le_u32_e32 vcc, s39, v8
	v_add_co_u32_e64 v19, s[4:5], 1, v14
	v_cndmask_b32_e64 v9, 0, -1, vcc
	v_cmp_le_u32_e32 vcc, s38, v7
	v_addc_co_u32_e64 v20, s[4:5], 0, v15, s[4:5]
	v_cndmask_b32_e64 v7, 0, -1, vcc
	v_cmp_eq_u32_e32 vcc, s39, v8
	v_cmp_ne_u32_e64 s[4:5], 0, v16
	v_cndmask_b32_e32 v7, v9, v7, vcc
	v_cmp_ne_u32_e32 vcc, 0, v7
	v_cndmask_b32_e64 v8, v19, v17, s[4:5]
	v_cndmask_b32_e64 v16, v20, v18, s[4:5]
	v_cndmask_b32_e32 v8, v14, v8, vcc
	v_cndmask_b32_e32 v7, v15, v16, vcc
	v_xor_b32_e32 v8, v8, v3
	v_xor_b32_e32 v7, v7, v3
	v_sub_co_u32_e32 v8, vcc, v8, v3
	v_subb_co_u32_e32 v9, vcc, v7, v3, vcc
.LBB20_14:                              ;   in Loop: Header=BB20_4 Depth=1
	s_andn2_saveexec_b64 s[4:5], s[6:7]
	s_cbranch_execz .LBB20_16
; %bb.15:                               ;   in Loop: Header=BB20_4 Depth=1
	v_cvt_f32_u32_e32 v3, s12
	s_sub_i32 s6, 0, s12
	v_rcp_iflag_f32_e32 v3, v3
	v_mul_f32_e32 v3, 0x4f7ffffe, v3
	v_cvt_u32_f32_e32 v3, v3
	v_mul_lo_u32 v7, s6, v3
	v_mul_hi_u32 v7, v3, v7
	v_add_u32_e32 v3, v3, v7
	v_mul_hi_u32 v3, v6, v3
	v_mul_lo_u32 v7, v3, s12
	v_add_u32_e32 v8, 1, v3
	v_sub_u32_e32 v7, v6, v7
	v_subrev_u32_e32 v9, s12, v7
	v_cmp_le_u32_e32 vcc, s12, v7
	v_cndmask_b32_e32 v7, v7, v9, vcc
	v_cndmask_b32_e32 v3, v3, v8, vcc
	v_add_u32_e32 v8, 1, v3
	v_cmp_le_u32_e32 vcc, s12, v7
	v_cndmask_b32_e32 v8, v3, v8, vcc
	v_mov_b32_e32 v9, v2
.LBB20_16:                              ;   in Loop: Header=BB20_4 Depth=1
	s_or_b64 exec, exec, s[4:5]
	v_mul_lo_u32 v7, v8, s12
	v_mov_b32_e32 v3, 0
	v_sub_u32_e32 v14, v6, v7
	v_cmp_le_i32_e32 vcc, s18, v14
	v_mov_b32_e32 v7, 0
	s_and_saveexec_b64 s[4:5], vcc
	s_cbranch_execz .LBB20_18
; %bb.17:                               ;   in Loop: Header=BB20_4 Depth=1
	v_subrev_u32_e32 v7, s18, v14
	v_mul_hi_u32 v15, v7, v10
	v_mul_lo_u32 v16, v15, s27
	v_add_u32_e32 v17, 1, v15
	v_sub_u32_e32 v7, v7, v16
	v_cmp_le_u32_e32 vcc, s27, v7
	v_subrev_u32_e32 v16, s27, v7
	v_cndmask_b32_e32 v15, v15, v17, vcc
	v_cndmask_b32_e32 v7, v7, v16, vcc
	v_add_u32_e32 v16, 1, v15
	v_cmp_le_u32_e32 vcc, s27, v7
	v_cndmask_b32_e32 v7, v15, v16, vcc
	v_xor_b32_e32 v7, s51, v7
	v_subrev_u32_e32 v7, s51, v7
	v_add_u32_e32 v7, 1, v7
.LBB20_18:                              ;   in Loop: Header=BB20_4 Depth=1
	s_or_b64 exec, exec, s[4:5]
	v_mul_lo_u32 v6, v6, s14
	v_sub_u32_e32 v15, v4, v6
	v_cmp_le_i32_e32 vcc, s19, v15
	s_and_saveexec_b64 s[4:5], vcc
	s_cbranch_execz .LBB20_20
; %bb.19:                               ;   in Loop: Header=BB20_4 Depth=1
	v_subrev_u32_e32 v3, s19, v15
	v_mul_hi_u32 v6, v3, v11
	v_mul_lo_u32 v16, v6, s33
	v_add_u32_e32 v17, 1, v6
	v_sub_u32_e32 v3, v3, v16
	v_cmp_le_u32_e32 vcc, s33, v3
	v_subrev_u32_e32 v16, s33, v3
	v_cndmask_b32_e32 v6, v6, v17, vcc
	v_cndmask_b32_e32 v3, v3, v16, vcc
	v_add_u32_e32 v16, 1, v6
	v_cmp_le_u32_e32 vcc, s33, v3
	v_cndmask_b32_e32 v3, v6, v16, vcc
	v_xor_b32_e32 v3, s52, v3
	v_subrev_u32_e32 v3, s52, v3
	v_add_u32_e32 v3, 1, v3
.LBB20_20:                              ;   in Loop: Header=BB20_4 Depth=1
	s_or_b64 exec, exec, s[4:5]
	v_sub_u32_e32 v6, 0, v14
	v_max_i32_e32 v6, v14, v6
	v_mul_hi_u32 v16, v6, v10
	v_ashrrev_i32_e32 v14, 31, v14
	v_xor_b32_e32 v14, s51, v14
	v_mul_lo_u32 v17, v16, s27
	v_add_u32_e32 v18, 1, v16
	v_sub_u32_e32 v6, v6, v17
	v_cmp_le_u32_e32 vcc, s27, v6
	v_subrev_u32_e32 v17, s27, v6
	v_cndmask_b32_e32 v16, v16, v18, vcc
	v_cndmask_b32_e32 v6, v6, v17, vcc
	v_add_u32_e32 v17, 1, v16
	v_cmp_le_u32_e32 vcc, s27, v6
	v_cndmask_b32_e32 v6, v16, v17, vcc
	v_xor_b32_e32 v6, v6, v14
	v_sub_u32_e32 v6, v6, v14
	v_add_u32_e32 v6, 1, v6
	v_min_i32_e32 v6, s16, v6
	v_cmp_lt_i32_e32 vcc, v7, v6
	v_mov_b32_e32 v14, 0
	s_and_saveexec_b64 s[36:37], vcc
	s_cbranch_execz .LBB20_3
; %bb.21:                               ;   in Loop: Header=BB20_4 Depth=1
	v_sub_u32_e32 v17, 0, v15
	v_max_i32_e32 v18, v15, v17
	v_mul_lo_u32 v14, v5, s10
	v_mul_lo_u32 v16, v4, s11
	v_mad_u64_u32 v[4:5], s[4:5], v4, s10, 0
	v_mul_hi_u32 v19, v18, v11
	s_mov_b64 s[38:39], 0
	v_add3_u32 v5, v5, v16, v14
	v_sub_co_u32_e32 v16, vcc, v0, v4
	v_mul_lo_u32 v14, v19, s33
	v_subb_co_u32_e32 v17, vcc, v1, v5, vcc
	v_ashrrev_i32_e32 v4, 31, v15
	v_sub_u32_e32 v5, v18, v14
	v_add_u32_e32 v14, 1, v19
	v_cmp_le_u32_e32 vcc, s33, v5
	v_subrev_u32_e32 v15, s33, v5
	v_cndmask_b32_e32 v14, v19, v14, vcc
	v_cndmask_b32_e32 v5, v5, v15, vcc
	v_add_u32_e32 v15, 1, v14
	v_cmp_le_u32_e32 vcc, s33, v5
	v_cndmask_b32_e32 v5, v14, v15, vcc
	v_mul_lo_u32 v14, s46, v8
	v_mul_lo_u32 v15, s47, v9
	v_mad_u64_u32 v[8:9], s[4:5], s47, v8, 0
	v_xor_b32_e32 v4, s52, v4
	v_xor_b32_e32 v5, v5, v4
	v_add3_u32 v9, v9, v15, v14
	v_lshlrev_b64 v[8:9], 1, v[8:9]
	v_sub_u32_e32 v4, v5, v4
	v_mov_b32_e32 v5, s9
	v_add_co_u32_e32 v14, vcc, s8, v8
	v_addc_co_u32_e32 v15, vcc, v5, v9, vcc
	v_lshlrev_b64 v[8:9], 1, v[16:17]
	v_mul_lo_u32 v17, s21, v3
	v_add_co_u32_e32 v5, vcc, v14, v8
	v_addc_co_u32_e32 v8, vcc, v15, v9, vcc
	v_mul_lo_u32 v9, s17, v7
	v_add_u32_e32 v4, 1, v4
	v_min_i32_e32 v4, s17, v4
	v_cmp_lt_i32_e64 s[4:5], v3, v4
	v_add_u32_e32 v15, s53, v17
	v_add_u32_e32 v16, s54, v17
	v_sub_u32_e32 v17, s23, v17
	v_mov_b32_e32 v14, 0
	s_branch .LBB20_24
.LBB20_22:                              ;   in Loop: Header=BB20_24 Depth=2
	s_or_b64 exec, exec, s[42:43]
.LBB20_23:                              ;   in Loop: Header=BB20_24 Depth=2
	s_or_b64 exec, exec, s[40:41]
	v_add_u32_e32 v7, 1, v7
	v_cmp_ge_i32_e32 vcc, v7, v6
	s_or_b64 s[38:39], vcc, s[38:39]
	v_add_u32_e32 v9, s17, v9
	s_andn2_b64 exec, exec, s[38:39]
	s_cbranch_execz .LBB20_2
.LBB20_24:                              ;   Parent Loop BB20_4 Depth=1
                                        ; =>  This Loop Header: Depth=2
                                        ;       Child Loop BB20_27 Depth 3
	s_and_saveexec_b64 s[40:41], s[4:5]
	s_cbranch_execz .LBB20_23
; %bb.25:                               ;   in Loop: Header=BB20_24 Depth=2
	v_mul_lo_u32 v18, v7, s20
	s_mov_b64 s[42:43], 0
	v_mov_b32_e32 v22, v15
	v_mov_b32_e32 v23, v3
	v_subrev_u32_e32 v18, s22, v18
	v_add_u32_e32 v19, s18, v18
	v_min_i32_e32 v19, s48, v19
	v_max_i32_e32 v20, 0, v18
	v_min_i32_e32 v21, s12, v19
	v_sub_u32_e32 v18, v19, v18
	v_cmp_gt_i32_e64 s[6:7], v21, v20
	v_sub_u32_e32 v19, v21, v20
	v_mov_b32_e32 v20, v17
	v_mov_b32_e32 v21, v16
	s_branch .LBB20_27
.LBB20_26:                              ;   in Loop: Header=BB20_27 Depth=3
	s_or_b64 exec, exec, s[44:45]
	v_add_u32_e32 v23, 1, v23
	v_cmp_ge_i32_e32 vcc, v23, v4
	v_add_u32_e32 v22, s21, v22
	v_add_u32_e32 v21, s21, v21
	s_or_b64 s[42:43], vcc, s[42:43]
	v_subrev_u32_e32 v20, s21, v20
	s_andn2_b64 exec, exec, s[42:43]
	s_cbranch_execz .LBB20_22
.LBB20_27:                              ;   Parent Loop BB20_4 Depth=1
                                        ;     Parent Loop BB20_24 Depth=2
                                        ; =>    This Inner Loop Header: Depth=3
	v_add_u32_e32 v25, s19, v22
	v_mov_b32_e32 v26, s14
	v_max_i32_e32 v24, 0, v22
	v_min3_i32 v25, v25, s49, v26
	v_cmp_gt_i32_e32 vcc, v25, v24
	s_and_b64 s[56:57], s[6:7], vcc
	s_and_saveexec_b64 s[44:45], s[56:57]
	s_cbranch_execz .LBB20_26
; %bb.28:                               ;   in Loop: Header=BB20_27 Depth=3
	v_add_u32_e32 v26, v9, v23
	v_ashrrev_i32_e32 v28, 31, v26
	v_mul_lo_u32 v29, s11, v26
	v_mad_u64_u32 v[26:27], s[56:57], s10, v26, 0
	v_mul_lo_u32 v28, s10, v28
	v_sub_u32_e32 v24, v25, v24
	v_mul_lo_u32 v24, v24, v19
	v_add3_u32 v27, v27, v28, v29
	v_lshlrev_b64 v[26:27], 1, v[26:27]
	v_add_co_u32_e32 v26, vcc, v5, v26
	v_addc_co_u32_e32 v27, vcc, v8, v27, vcc
	global_load_ushort v26, v[26:27], off
	v_min_i32_e32 v27, s49, v21
	v_add_u32_e32 v25, v27, v20
	v_mul_lo_u32 v25, v25, v18
	v_mov_b32_e32 v27, s26
	v_cndmask_b32_e64 v24, v24, v25, s[0:1]
	v_cndmask_b32_e64 v24, v24, v27, s[2:3]
	v_cvt_f32_i32_e32 v24, v24
	v_bfe_u32 v25, v24, 16, 1
	v_add3_u32 v24, v24, v25, s55
	v_and_b32_e32 v24, 0xffff0000, v24
	s_waitcnt vmcnt(0)
	v_lshlrev_b32_e32 v25, 16, v26
	v_div_scale_f32 v26, s[56:57], v24, v24, v25
	v_div_scale_f32 v27, vcc, v25, v24, v25
	v_rcp_f32_e32 v28, v26
	v_fma_f32 v29, -v26, v28, 1.0
	v_fmac_f32_e32 v28, v29, v28
	v_mul_f32_e32 v29, v27, v28
	v_fma_f32 v30, -v26, v29, v27
	v_fmac_f32_e32 v29, v30, v28
	v_fma_f32 v26, -v26, v29, v27
	v_div_fmas_f32 v26, v26, v28, v29
	v_div_fixup_f32 v24, v26, v24, v25
	v_bfe_u32 v25, v24, 16, 1
	v_add3_u32 v25, v24, v25, s55
	v_and_b32_e32 v25, 0xffff0000, v25
	v_cmp_o_f32_e32 vcc, v24, v24
	v_cndmask_b32_e32 v24, v12, v25, vcc
	v_add_f32_e32 v14, v14, v24
	s_branch .LBB20_26
.LBB20_29:
	s_endpgm
	.section	.rodata,"a",@progbits
	.p2align	6, 0x0
	.amdhsa_kernel _ZN2at6native12_GLOBAL__N_139avg_pool2d_backward_out_cuda_frame_nhwcIN3c108BFloat16EfiEEvT1_PKT_llliiiiiiiiPS6_ibb
		.amdhsa_group_segment_fixed_size 0
		.amdhsa_private_segment_fixed_size 0
		.amdhsa_kernarg_size 344
		.amdhsa_user_sgpr_count 6
		.amdhsa_user_sgpr_private_segment_buffer 1
		.amdhsa_user_sgpr_dispatch_ptr 0
		.amdhsa_user_sgpr_queue_ptr 0
		.amdhsa_user_sgpr_kernarg_segment_ptr 1
		.amdhsa_user_sgpr_dispatch_id 0
		.amdhsa_user_sgpr_flat_scratch_init 0
		.amdhsa_user_sgpr_private_segment_size 0
		.amdhsa_uses_dynamic_stack 0
		.amdhsa_system_sgpr_private_segment_wavefront_offset 0
		.amdhsa_system_sgpr_workgroup_id_x 1
		.amdhsa_system_sgpr_workgroup_id_y 0
		.amdhsa_system_sgpr_workgroup_id_z 0
		.amdhsa_system_sgpr_workgroup_info 0
		.amdhsa_system_vgpr_workitem_id 0
		.amdhsa_next_free_vgpr 31
		.amdhsa_next_free_sgpr 58
		.amdhsa_reserve_vcc 1
		.amdhsa_reserve_flat_scratch 0
		.amdhsa_float_round_mode_32 0
		.amdhsa_float_round_mode_16_64 0
		.amdhsa_float_denorm_mode_32 3
		.amdhsa_float_denorm_mode_16_64 3
		.amdhsa_dx10_clamp 1
		.amdhsa_ieee_mode 1
		.amdhsa_fp16_overflow 0
		.amdhsa_exception_fp_ieee_invalid_op 0
		.amdhsa_exception_fp_denorm_src 0
		.amdhsa_exception_fp_ieee_div_zero 0
		.amdhsa_exception_fp_ieee_overflow 0
		.amdhsa_exception_fp_ieee_underflow 0
		.amdhsa_exception_fp_ieee_inexact 0
		.amdhsa_exception_int_div_zero 0
	.end_amdhsa_kernel
	.section	.text._ZN2at6native12_GLOBAL__N_139avg_pool2d_backward_out_cuda_frame_nhwcIN3c108BFloat16EfiEEvT1_PKT_llliiiiiiiiPS6_ibb,"axG",@progbits,_ZN2at6native12_GLOBAL__N_139avg_pool2d_backward_out_cuda_frame_nhwcIN3c108BFloat16EfiEEvT1_PKT_llliiiiiiiiPS6_ibb,comdat
.Lfunc_end20:
	.size	_ZN2at6native12_GLOBAL__N_139avg_pool2d_backward_out_cuda_frame_nhwcIN3c108BFloat16EfiEEvT1_PKT_llliiiiiiiiPS6_ibb, .Lfunc_end20-_ZN2at6native12_GLOBAL__N_139avg_pool2d_backward_out_cuda_frame_nhwcIN3c108BFloat16EfiEEvT1_PKT_llliiiiiiiiPS6_ibb
                                        ; -- End function
	.set _ZN2at6native12_GLOBAL__N_139avg_pool2d_backward_out_cuda_frame_nhwcIN3c108BFloat16EfiEEvT1_PKT_llliiiiiiiiPS6_ibb.num_vgpr, 31
	.set _ZN2at6native12_GLOBAL__N_139avg_pool2d_backward_out_cuda_frame_nhwcIN3c108BFloat16EfiEEvT1_PKT_llliiiiiiiiPS6_ibb.num_agpr, 0
	.set _ZN2at6native12_GLOBAL__N_139avg_pool2d_backward_out_cuda_frame_nhwcIN3c108BFloat16EfiEEvT1_PKT_llliiiiiiiiPS6_ibb.numbered_sgpr, 58
	.set _ZN2at6native12_GLOBAL__N_139avg_pool2d_backward_out_cuda_frame_nhwcIN3c108BFloat16EfiEEvT1_PKT_llliiiiiiiiPS6_ibb.num_named_barrier, 0
	.set _ZN2at6native12_GLOBAL__N_139avg_pool2d_backward_out_cuda_frame_nhwcIN3c108BFloat16EfiEEvT1_PKT_llliiiiiiiiPS6_ibb.private_seg_size, 0
	.set _ZN2at6native12_GLOBAL__N_139avg_pool2d_backward_out_cuda_frame_nhwcIN3c108BFloat16EfiEEvT1_PKT_llliiiiiiiiPS6_ibb.uses_vcc, 1
	.set _ZN2at6native12_GLOBAL__N_139avg_pool2d_backward_out_cuda_frame_nhwcIN3c108BFloat16EfiEEvT1_PKT_llliiiiiiiiPS6_ibb.uses_flat_scratch, 0
	.set _ZN2at6native12_GLOBAL__N_139avg_pool2d_backward_out_cuda_frame_nhwcIN3c108BFloat16EfiEEvT1_PKT_llliiiiiiiiPS6_ibb.has_dyn_sized_stack, 0
	.set _ZN2at6native12_GLOBAL__N_139avg_pool2d_backward_out_cuda_frame_nhwcIN3c108BFloat16EfiEEvT1_PKT_llliiiiiiiiPS6_ibb.has_recursion, 0
	.set _ZN2at6native12_GLOBAL__N_139avg_pool2d_backward_out_cuda_frame_nhwcIN3c108BFloat16EfiEEvT1_PKT_llliiiiiiiiPS6_ibb.has_indirect_call, 0
	.section	.AMDGPU.csdata,"",@progbits
; Kernel info:
; codeLenInByte = 3636
; TotalNumSgprs: 62
; NumVgprs: 31
; ScratchSize: 0
; MemoryBound: 0
; FloatMode: 240
; IeeeMode: 1
; LDSByteSize: 0 bytes/workgroup (compile time only)
; SGPRBlocks: 7
; VGPRBlocks: 7
; NumSGPRsForWavesPerEU: 62
; NumVGPRsForWavesPerEU: 31
; Occupancy: 8
; WaveLimiterHint : 0
; COMPUTE_PGM_RSRC2:SCRATCH_EN: 0
; COMPUTE_PGM_RSRC2:USER_SGPR: 6
; COMPUTE_PGM_RSRC2:TRAP_HANDLER: 0
; COMPUTE_PGM_RSRC2:TGID_X_EN: 1
; COMPUTE_PGM_RSRC2:TGID_Y_EN: 0
; COMPUTE_PGM_RSRC2:TGID_Z_EN: 0
; COMPUTE_PGM_RSRC2:TIDIG_COMP_CNT: 0
	.section	.text._ZN2at6native12_GLOBAL__N_134avg_pool2d_backward_out_cuda_frameIN3c108BFloat16EfiEEvT1_PKT_llllliiiiiiPS6_ibb,"axG",@progbits,_ZN2at6native12_GLOBAL__N_134avg_pool2d_backward_out_cuda_frameIN3c108BFloat16EfiEEvT1_PKT_llllliiiiiiPS6_ibb,comdat
	.globl	_ZN2at6native12_GLOBAL__N_134avg_pool2d_backward_out_cuda_frameIN3c108BFloat16EfiEEvT1_PKT_llllliiiiiiPS6_ibb ; -- Begin function _ZN2at6native12_GLOBAL__N_134avg_pool2d_backward_out_cuda_frameIN3c108BFloat16EfiEEvT1_PKT_llllliiiiiiPS6_ibb
	.p2align	8
	.type	_ZN2at6native12_GLOBAL__N_134avg_pool2d_backward_out_cuda_frameIN3c108BFloat16EfiEEvT1_PKT_llllliiiiiiPS6_ibb,@function
_ZN2at6native12_GLOBAL__N_134avg_pool2d_backward_out_cuda_frameIN3c108BFloat16EfiEEvT1_PKT_llllliiiiiiPS6_ibb: ; @_ZN2at6native12_GLOBAL__N_134avg_pool2d_backward_out_cuda_frameIN3c108BFloat16EfiEEvT1_PKT_llllliiiiiiPS6_ibb
; %bb.0:
	s_load_dword s24, s[4:5], 0x0
	s_load_dword s0, s[4:5], 0x6c
	v_mov_b32_e32 v2, 0
	v_mov_b32_e32 v1, v2
	;; [unrolled: 1-line block ×3, first 2 shown]
	s_waitcnt lgkmcnt(0)
	s_ashr_i32 s25, s24, 31
	s_add_u32 s30, s4, 0x60
	s_addc_u32 s31, s5, 0
	s_and_b32 s7, s0, 0xffff
	v_mad_u64_u32 v[0:1], s[0:1], s7, v3, v[0:1]
	v_cmp_gt_i64_e32 vcc, s[24:25], v[0:1]
	s_and_saveexec_b64 s[0:1], vcc
	s_cbranch_execz .LBB21_25
; %bb.1:
	s_load_dwordx2 s[26:27], s[4:5], 0x58
	s_load_dword s2, s[4:5], 0x5c
	s_load_dwordx8 s[8:15], s[4:5], 0x18
	s_load_dwordx8 s[16:23], s[4:5], 0x38
	s_load_dwordx2 s[28:29], s[4:5], 0x8
	s_waitcnt lgkmcnt(0)
	s_bitcmp1_b32 s27, 0
	s_cselect_b64 s[0:1], -1, 0
	s_bitcmp1_b32 s2, 8
	s_cselect_b64 s[2:3], -1, 0
	s_abs_i32 s27, s18
	v_cvt_f32_u32_e32 v3, s27
	s_abs_i32 s33, s19
	v_cvt_f32_u32_e32 v4, s33
	s_sub_i32 s5, 0, s27
	v_rcp_iflag_f32_e32 v3, v3
	s_load_dword s4, s[30:31], 0x0
	v_rcp_iflag_f32_e32 v4, v4
	s_add_i32 s50, s20, s8
	v_mul_f32_e32 v3, 0x4f7ffffe, v3
	v_cvt_u32_f32_e32 v3, v3
	v_mul_f32_e32 v4, 0x4f7ffffe, v4
	v_cvt_u32_f32_e32 v4, v4
	s_add_i32 s51, s21, s10
	v_mul_lo_u32 v5, s5, v3
	s_sub_i32 s5, 0, s33
	v_mul_lo_u32 v6, s5, v4
	s_waitcnt lgkmcnt(0)
	s_mul_i32 s52, s4, s7
	v_mul_hi_u32 v5, v3, v5
	s_ashr_i32 s53, s18, 31
	v_mul_hi_u32 v6, v4, v6
	s_ashr_i32 s54, s19, 31
	v_add_u32_e32 v10, v3, v5
	s_lshl_b64 s[30:31], s[12:13], 1
	v_add_u32_e32 v11, v4, v6
	s_lshl_b64 s[34:35], s[14:15], 1
	s_sub_i32 s13, 0, s21
	s_sub_i32 s55, s17, s21
	s_mov_b64 s[36:37], 0
	s_ashr_i32 s38, s11, 31
	s_movk_i32 s56, 0x7fff
	v_mov_b32_e32 v12, 0x7fc00000
	v_mov_b32_e32 v13, 0x7fc0
	s_branch .LBB21_4
.LBB21_2:                               ;   in Loop: Header=BB21_4 Depth=1
	s_or_b64 exec, exec, s[42:43]
.LBB21_3:                               ;   in Loop: Header=BB21_4 Depth=1
	s_or_b64 exec, exec, s[40:41]
	v_bfe_u32 v3, v4, 16, 1
	v_add3_u32 v3, v4, v3, s56
	v_cmp_o_f32_e32 vcc, v4, v4
	v_cndmask_b32_sdwa v5, v13, v3, vcc dst_sel:DWORD dst_unused:UNUSED_PAD src0_sel:DWORD src1_sel:WORD_1
	v_lshlrev_b64 v[3:4], 1, v[0:1]
	v_add_co_u32_e32 v0, vcc, s52, v0
	v_addc_co_u32_e32 v1, vcc, 0, v1, vcc
	v_cmp_le_i64_e32 vcc, s[24:25], v[0:1]
	v_mov_b32_e32 v6, s23
	v_add_co_u32_e64 v3, s[4:5], s22, v3
	v_addc_co_u32_e64 v4, s[4:5], v6, v4, s[4:5]
	s_or_b64 s[36:37], vcc, s[36:37]
	global_store_short v[3:4], v5, off
	s_andn2_b64 exec, exec, s[36:37]
	s_cbranch_execz .LBB21_25
.LBB21_4:                               ; =>This Loop Header: Depth=1
                                        ;     Child Loop BB21_20 Depth 2
                                        ;       Child Loop BB21_23 Depth 3
	v_or_b32_e32 v3, s11, v1
	v_cmp_ne_u64_e32 vcc, 0, v[2:3]
                                        ; implicit-def: $vgpr4_vgpr5
	s_and_saveexec_b64 s[4:5], vcc
	s_xor_b64 s[6:7], exec, s[4:5]
	s_cbranch_execz .LBB21_6
; %bb.5:                                ;   in Loop: Header=BB21_4 Depth=1
	s_add_u32 s4, s10, s38
	s_mov_b32 s39, s38
	s_addc_u32 s5, s11, s38
	s_xor_b64 s[40:41], s[4:5], s[38:39]
	v_cvt_f32_u32_e32 v3, s40
	v_cvt_f32_u32_e32 v4, s41
	s_sub_u32 s39, 0, s40
	s_subb_u32 s42, 0, s41
	v_ashrrev_i32_e32 v7, 31, v1
	v_mac_f32_e32 v3, 0x4f800000, v4
	v_rcp_f32_e32 v3, v3
	v_mul_f32_e32 v3, 0x5f7ffffc, v3
	v_mul_f32_e32 v4, 0x2f800000, v3
	v_trunc_f32_e32 v4, v4
	v_mac_f32_e32 v3, 0xcf800000, v4
	v_cvt_u32_f32_e32 v4, v4
	v_cvt_u32_f32_e32 v3, v3
	v_readfirstlane_b32 s43, v4
	v_readfirstlane_b32 s4, v3
	s_mul_i32 s5, s39, s43
	s_mul_hi_u32 s45, s39, s4
	s_mul_i32 s44, s42, s4
	s_add_i32 s5, s45, s5
	s_add_i32 s5, s5, s44
	s_mul_i32 s46, s39, s4
	s_mul_i32 s45, s4, s5
	s_mul_hi_u32 s47, s4, s46
	s_mul_hi_u32 s44, s4, s5
	s_add_u32 s45, s47, s45
	s_addc_u32 s44, 0, s44
	s_mul_hi_u32 s48, s43, s46
	s_mul_i32 s46, s43, s46
	s_add_u32 s45, s45, s46
	s_mul_hi_u32 s47, s43, s5
	s_addc_u32 s44, s44, s48
	s_addc_u32 s45, s47, 0
	s_mul_i32 s5, s43, s5
	s_add_u32 s5, s44, s5
	s_addc_u32 s44, 0, s45
	s_add_u32 s45, s4, s5
	s_cselect_b64 s[4:5], -1, 0
	s_cmp_lg_u64 s[4:5], 0
	s_addc_u32 s43, s43, s44
	s_mul_i32 s4, s39, s43
	s_mul_hi_u32 s5, s39, s45
	s_add_i32 s4, s5, s4
	s_mul_i32 s42, s42, s45
	s_add_i32 s4, s4, s42
	s_mul_i32 s39, s39, s45
	s_mul_hi_u32 s42, s43, s39
	s_mul_i32 s44, s43, s39
	s_mul_i32 s47, s45, s4
	s_mul_hi_u32 s39, s45, s39
	s_mul_hi_u32 s46, s45, s4
	s_add_u32 s39, s39, s47
	s_addc_u32 s46, 0, s46
	s_add_u32 s39, s39, s44
	s_mul_hi_u32 s5, s43, s4
	s_addc_u32 s39, s46, s42
	s_addc_u32 s5, s5, 0
	s_mul_i32 s4, s43, s4
	s_add_u32 s4, s39, s4
	s_addc_u32 s39, 0, s5
	s_add_u32 s42, s45, s4
	s_cselect_b64 s[4:5], -1, 0
	s_cmp_lg_u64 s[4:5], 0
	v_add_co_u32_e32 v3, vcc, v0, v7
	s_addc_u32 s39, s43, s39
	v_xor_b32_e32 v8, v3, v7
	v_mad_u64_u32 v[3:4], s[4:5], v8, s39, 0
	v_mul_hi_u32 v6, v8, s42
	v_addc_co_u32_e32 v5, vcc, v1, v7, vcc
	v_xor_b32_e32 v9, v5, v7
	v_add_co_u32_e32 v14, vcc, v6, v3
	v_addc_co_u32_e32 v15, vcc, 0, v4, vcc
	v_mad_u64_u32 v[3:4], s[4:5], v9, s42, 0
	v_mad_u64_u32 v[5:6], s[4:5], v9, s39, 0
	v_add_co_u32_e32 v3, vcc, v14, v3
	v_addc_co_u32_e32 v3, vcc, v15, v4, vcc
	v_addc_co_u32_e32 v4, vcc, 0, v6, vcc
	v_add_co_u32_e32 v5, vcc, v3, v5
	v_addc_co_u32_e32 v6, vcc, 0, v4, vcc
	v_mul_lo_u32 v14, s41, v5
	v_mul_lo_u32 v15, s40, v6
	v_mad_u64_u32 v[3:4], s[4:5], s40, v5, 0
	v_add3_u32 v4, v4, v15, v14
	v_sub_u32_e32 v14, v9, v4
	v_mov_b32_e32 v15, s41
	v_sub_co_u32_e32 v3, vcc, v8, v3
	v_subb_co_u32_e64 v8, s[4:5], v14, v15, vcc
	v_subrev_co_u32_e64 v14, s[4:5], s40, v3
	v_subbrev_co_u32_e64 v8, s[4:5], 0, v8, s[4:5]
	v_cmp_le_u32_e64 s[4:5], s41, v8
	v_cndmask_b32_e64 v15, 0, -1, s[4:5]
	v_cmp_le_u32_e64 s[4:5], s40, v14
	v_cndmask_b32_e64 v14, 0, -1, s[4:5]
	v_cmp_eq_u32_e64 s[4:5], s41, v8
	v_cndmask_b32_e64 v8, v15, v14, s[4:5]
	v_add_co_u32_e64 v14, s[4:5], 2, v5
	v_subb_co_u32_e32 v4, vcc, v9, v4, vcc
	v_addc_co_u32_e64 v15, s[4:5], 0, v6, s[4:5]
	v_cmp_le_u32_e32 vcc, s41, v4
	v_add_co_u32_e64 v16, s[4:5], 1, v5
	v_cndmask_b32_e64 v9, 0, -1, vcc
	v_cmp_le_u32_e32 vcc, s40, v3
	v_addc_co_u32_e64 v17, s[4:5], 0, v6, s[4:5]
	v_cndmask_b32_e64 v3, 0, -1, vcc
	v_cmp_eq_u32_e32 vcc, s41, v4
	v_cmp_ne_u32_e64 s[4:5], 0, v8
	v_cndmask_b32_e32 v3, v9, v3, vcc
	v_cmp_ne_u32_e32 vcc, 0, v3
	v_cndmask_b32_e64 v4, v16, v14, s[4:5]
	v_cndmask_b32_e64 v8, v17, v15, s[4:5]
	v_cndmask_b32_e32 v4, v5, v4, vcc
	v_xor_b32_e32 v5, s38, v7
	v_cndmask_b32_e32 v3, v6, v8, vcc
	v_xor_b32_e32 v4, v4, v5
	v_xor_b32_e32 v3, v3, v5
	v_sub_co_u32_e32 v4, vcc, v4, v5
	v_subb_co_u32_e32 v5, vcc, v3, v5, vcc
.LBB21_6:                               ;   in Loop: Header=BB21_4 Depth=1
	s_andn2_saveexec_b64 s[4:5], s[6:7]
	s_cbranch_execz .LBB21_8
; %bb.7:                                ;   in Loop: Header=BB21_4 Depth=1
	v_cvt_f32_u32_e32 v3, s10
	s_sub_i32 s6, 0, s10
	v_rcp_iflag_f32_e32 v3, v3
	v_mul_f32_e32 v3, 0x4f7ffffe, v3
	v_cvt_u32_f32_e32 v3, v3
	v_mul_lo_u32 v4, s6, v3
	v_mul_hi_u32 v4, v3, v4
	v_add_u32_e32 v3, v3, v4
	v_mul_hi_u32 v3, v0, v3
	v_mul_lo_u32 v4, v3, s10
	v_add_u32_e32 v5, 1, v3
	v_sub_u32_e32 v4, v0, v4
	v_subrev_u32_e32 v6, s10, v4
	v_cmp_le_u32_e32 vcc, s10, v4
	v_cndmask_b32_e32 v4, v4, v6, vcc
	v_cndmask_b32_e32 v3, v3, v5, vcc
	v_add_u32_e32 v5, 1, v3
	v_cmp_le_u32_e32 vcc, s10, v4
	v_cndmask_b32_e32 v4, v3, v5, vcc
	v_mov_b32_e32 v5, v2
.LBB21_8:                               ;   in Loop: Header=BB21_4 Depth=1
	s_or_b64 exec, exec, s[4:5]
	v_or_b32_e32 v3, s9, v5
	v_cmp_ne_u64_e32 vcc, 0, v[2:3]
                                        ; implicit-def: $vgpr7_vgpr8
	s_and_saveexec_b64 s[4:5], vcc
	s_xor_b64 s[6:7], exec, s[4:5]
	s_cbranch_execz .LBB21_10
; %bb.9:                                ;   in Loop: Header=BB21_4 Depth=1
	s_ashr_i32 s40, s9, 31
	s_add_u32 s4, s8, s40
	s_mov_b32 s41, s40
	s_addc_u32 s5, s9, s40
	s_xor_b64 s[42:43], s[4:5], s[40:41]
	v_cvt_f32_u32_e32 v3, s42
	v_cvt_f32_u32_e32 v6, s43
	s_sub_u32 s39, 0, s42
	s_subb_u32 s41, 0, s43
	v_mac_f32_e32 v3, 0x4f800000, v6
	v_rcp_f32_e32 v3, v3
	v_mul_f32_e32 v3, 0x5f7ffffc, v3
	v_mul_f32_e32 v6, 0x2f800000, v3
	v_trunc_f32_e32 v6, v6
	v_mac_f32_e32 v3, 0xcf800000, v6
	v_cvt_u32_f32_e32 v6, v6
	v_cvt_u32_f32_e32 v3, v3
	v_readfirstlane_b32 s44, v6
	v_readfirstlane_b32 s4, v3
	s_mul_i32 s5, s39, s44
	s_mul_hi_u32 s46, s39, s4
	s_mul_i32 s45, s41, s4
	s_add_i32 s5, s46, s5
	s_add_i32 s5, s5, s45
	s_mul_i32 s47, s39, s4
	s_mul_i32 s46, s4, s5
	s_mul_hi_u32 s48, s4, s47
	s_mul_hi_u32 s45, s4, s5
	s_add_u32 s46, s48, s46
	s_addc_u32 s45, 0, s45
	s_mul_hi_u32 s49, s44, s47
	s_mul_i32 s47, s44, s47
	s_add_u32 s46, s46, s47
	s_mul_hi_u32 s48, s44, s5
	s_addc_u32 s45, s45, s49
	s_addc_u32 s46, s48, 0
	s_mul_i32 s5, s44, s5
	s_add_u32 s5, s45, s5
	s_addc_u32 s45, 0, s46
	s_add_u32 s46, s4, s5
	s_cselect_b64 s[4:5], -1, 0
	s_cmp_lg_u64 s[4:5], 0
	s_addc_u32 s44, s44, s45
	s_mul_i32 s4, s39, s44
	s_mul_hi_u32 s5, s39, s46
	s_add_i32 s4, s5, s4
	s_mul_i32 s41, s41, s46
	s_add_i32 s4, s4, s41
	s_mul_i32 s39, s39, s46
	s_mul_hi_u32 s41, s44, s39
	s_mul_i32 s45, s44, s39
	s_mul_i32 s48, s46, s4
	s_mul_hi_u32 s39, s46, s39
	s_mul_hi_u32 s47, s46, s4
	s_add_u32 s39, s39, s48
	s_addc_u32 s47, 0, s47
	s_add_u32 s39, s39, s45
	s_mul_hi_u32 s5, s44, s4
	s_addc_u32 s39, s47, s41
	s_addc_u32 s5, s5, 0
	s_mul_i32 s4, s44, s4
	s_add_u32 s4, s39, s4
	s_addc_u32 s39, 0, s5
	s_add_u32 s41, s46, s4
	s_cselect_b64 s[4:5], -1, 0
	v_ashrrev_i32_e32 v3, 31, v5
	s_cmp_lg_u64 s[4:5], 0
	v_add_co_u32_e32 v6, vcc, v4, v3
	s_addc_u32 s39, s44, s39
	v_xor_b32_e32 v9, v6, v3
	v_addc_co_u32_e32 v7, vcc, v5, v3, vcc
	v_mad_u64_u32 v[5:6], s[4:5], v9, s39, 0
	v_mul_hi_u32 v8, v9, s41
	v_xor_b32_e32 v14, v7, v3
	v_xor_b32_e32 v3, s40, v3
	v_add_co_u32_e32 v15, vcc, v8, v5
	v_addc_co_u32_e32 v16, vcc, 0, v6, vcc
	v_mad_u64_u32 v[5:6], s[4:5], v14, s41, 0
	v_mad_u64_u32 v[7:8], s[4:5], v14, s39, 0
	v_add_co_u32_e32 v5, vcc, v15, v5
	v_addc_co_u32_e32 v5, vcc, v16, v6, vcc
	v_addc_co_u32_e32 v6, vcc, 0, v8, vcc
	v_add_co_u32_e32 v7, vcc, v5, v7
	v_addc_co_u32_e32 v8, vcc, 0, v6, vcc
	v_mul_lo_u32 v15, s43, v7
	v_mul_lo_u32 v16, s42, v8
	v_mad_u64_u32 v[5:6], s[4:5], s42, v7, 0
	v_add3_u32 v6, v6, v16, v15
	v_sub_u32_e32 v15, v14, v6
	v_mov_b32_e32 v16, s43
	v_sub_co_u32_e32 v5, vcc, v9, v5
	v_subb_co_u32_e64 v9, s[4:5], v15, v16, vcc
	v_subrev_co_u32_e64 v15, s[4:5], s42, v5
	v_subbrev_co_u32_e64 v9, s[4:5], 0, v9, s[4:5]
	v_cmp_le_u32_e64 s[4:5], s43, v9
	v_cndmask_b32_e64 v16, 0, -1, s[4:5]
	v_cmp_le_u32_e64 s[4:5], s42, v15
	v_cndmask_b32_e64 v15, 0, -1, s[4:5]
	v_cmp_eq_u32_e64 s[4:5], s43, v9
	v_cndmask_b32_e64 v9, v16, v15, s[4:5]
	v_add_co_u32_e64 v15, s[4:5], 2, v7
	v_subb_co_u32_e32 v6, vcc, v14, v6, vcc
	v_addc_co_u32_e64 v16, s[4:5], 0, v8, s[4:5]
	v_cmp_le_u32_e32 vcc, s43, v6
	v_add_co_u32_e64 v17, s[4:5], 1, v7
	v_cndmask_b32_e64 v14, 0, -1, vcc
	v_cmp_le_u32_e32 vcc, s42, v5
	v_addc_co_u32_e64 v18, s[4:5], 0, v8, s[4:5]
	v_cndmask_b32_e64 v5, 0, -1, vcc
	v_cmp_eq_u32_e32 vcc, s43, v6
	v_cmp_ne_u32_e64 s[4:5], 0, v9
	v_cndmask_b32_e32 v5, v14, v5, vcc
	v_cmp_ne_u32_e32 vcc, 0, v5
	v_cndmask_b32_e64 v6, v17, v15, s[4:5]
	v_cndmask_b32_e64 v9, v18, v16, s[4:5]
	v_cndmask_b32_e32 v6, v7, v6, vcc
	v_cndmask_b32_e32 v5, v8, v9, vcc
	v_xor_b32_e32 v6, v6, v3
	v_xor_b32_e32 v5, v5, v3
	v_sub_co_u32_e32 v7, vcc, v6, v3
	v_subb_co_u32_e32 v8, vcc, v5, v3, vcc
.LBB21_10:                              ;   in Loop: Header=BB21_4 Depth=1
	s_andn2_saveexec_b64 s[4:5], s[6:7]
	s_cbranch_execz .LBB21_12
; %bb.11:                               ;   in Loop: Header=BB21_4 Depth=1
	v_cvt_f32_u32_e32 v3, s8
	s_sub_i32 s6, 0, s8
	v_mov_b32_e32 v8, v2
	v_rcp_iflag_f32_e32 v3, v3
	v_mul_f32_e32 v3, 0x4f7ffffe, v3
	v_cvt_u32_f32_e32 v3, v3
	v_mul_lo_u32 v5, s6, v3
	v_mul_hi_u32 v5, v3, v5
	v_add_u32_e32 v3, v3, v5
	v_mul_hi_u32 v3, v4, v3
	v_mul_lo_u32 v5, v3, s8
	v_add_u32_e32 v6, 1, v3
	v_sub_u32_e32 v5, v4, v5
	v_subrev_u32_e32 v7, s8, v5
	v_cmp_le_u32_e32 vcc, s8, v5
	v_cndmask_b32_e32 v5, v5, v7, vcc
	v_cndmask_b32_e32 v3, v3, v6, vcc
	v_add_u32_e32 v6, 1, v3
	v_cmp_le_u32_e32 vcc, s8, v5
	v_cndmask_b32_e32 v7, v3, v6, vcc
.LBB21_12:                              ;   in Loop: Header=BB21_4 Depth=1
	s_or_b64 exec, exec, s[4:5]
	v_mul_lo_u32 v5, v7, s8
	v_mov_b32_e32 v3, 0
	v_sub_u32_e32 v5, v4, v5
	v_add_u32_e32 v6, s20, v5
	v_cmp_le_i32_e32 vcc, s16, v6
	v_mov_b32_e32 v5, 0
	s_and_saveexec_b64 s[4:5], vcc
	s_cbranch_execz .LBB21_14
; %bb.13:                               ;   in Loop: Header=BB21_4 Depth=1
	v_subrev_u32_e32 v5, s16, v6
	v_mul_hi_u32 v9, v5, v10
	v_mul_lo_u32 v14, v9, s27
	v_add_u32_e32 v15, 1, v9
	v_sub_u32_e32 v5, v5, v14
	v_cmp_le_u32_e32 vcc, s27, v5
	v_subrev_u32_e32 v14, s27, v5
	v_cndmask_b32_e32 v9, v9, v15, vcc
	v_cndmask_b32_e32 v5, v5, v14, vcc
	v_add_u32_e32 v14, 1, v9
	v_cmp_le_u32_e32 vcc, s27, v5
	v_cndmask_b32_e32 v5, v9, v14, vcc
	v_xor_b32_e32 v5, s53, v5
	v_subrev_u32_e32 v5, s53, v5
	v_add_u32_e32 v5, 1, v5
.LBB21_14:                              ;   in Loop: Header=BB21_4 Depth=1
	s_or_b64 exec, exec, s[4:5]
	v_mul_lo_u32 v4, v4, s10
	v_sub_u32_e32 v4, v0, v4
	v_add_u32_e32 v9, s21, v4
	v_cmp_le_i32_e32 vcc, s17, v9
	s_and_saveexec_b64 s[4:5], vcc
	s_cbranch_execz .LBB21_16
; %bb.15:                               ;   in Loop: Header=BB21_4 Depth=1
	v_subrev_u32_e32 v3, s17, v9
	v_mul_hi_u32 v4, v3, v11
	v_mul_lo_u32 v14, v4, s33
	v_add_u32_e32 v15, 1, v4
	v_sub_u32_e32 v3, v3, v14
	v_cmp_le_u32_e32 vcc, s33, v3
	v_subrev_u32_e32 v14, s33, v3
	v_cndmask_b32_e32 v4, v4, v15, vcc
	v_cndmask_b32_e32 v3, v3, v14, vcc
	v_add_u32_e32 v14, 1, v4
	v_cmp_le_u32_e32 vcc, s33, v3
	v_cndmask_b32_e32 v3, v4, v14, vcc
	v_xor_b32_e32 v3, s54, v3
	v_subrev_u32_e32 v3, s54, v3
	v_add_u32_e32 v3, 1, v3
.LBB21_16:                              ;   in Loop: Header=BB21_4 Depth=1
	s_or_b64 exec, exec, s[4:5]
	v_sub_u32_e32 v4, 0, v6
	v_max_i32_e32 v4, v6, v4
	v_mul_hi_u32 v14, v4, v10
	v_ashrrev_i32_e32 v6, 31, v6
	v_xor_b32_e32 v6, s53, v6
	v_mul_lo_u32 v15, v14, s27
	v_add_u32_e32 v16, 1, v14
	v_sub_u32_e32 v4, v4, v15
	v_cmp_le_u32_e32 vcc, s27, v4
	v_subrev_u32_e32 v15, s27, v4
	v_cndmask_b32_e32 v14, v14, v16, vcc
	v_cndmask_b32_e32 v4, v4, v15, vcc
	v_add_u32_e32 v15, 1, v14
	v_cmp_le_u32_e32 vcc, s27, v4
	v_cndmask_b32_e32 v4, v14, v15, vcc
	v_xor_b32_e32 v4, v4, v6
	v_sub_u32_e32 v4, v4, v6
	v_add_u32_e32 v4, 1, v4
	v_min_i32_e32 v14, s12, v4
	v_cmp_lt_i32_e32 vcc, v5, v14
	v_mov_b32_e32 v4, 0
	s_and_saveexec_b64 s[40:41], vcc
	s_cbranch_execz .LBB21_3
; %bb.17:                               ;   in Loop: Header=BB21_4 Depth=1
	v_sub_u32_e32 v4, 0, v9
	v_max_i32_e32 v4, v9, v4
	v_mul_hi_u32 v6, v4, v11
	v_ashrrev_i32_e32 v9, 31, v9
	v_mul_lo_u32 v8, s30, v8
	v_mul_lo_u32 v19, s31, v7
	;; [unrolled: 1-line block ×3, first 2 shown]
	v_add_u32_e32 v16, 1, v6
	v_xor_b32_e32 v9, s54, v9
	s_mov_b64 s[42:43], 0
	v_sub_u32_e32 v4, v4, v15
	v_cmp_le_u32_e32 vcc, s33, v4
	v_cndmask_b32_e32 v17, v6, v16, vcc
	v_subrev_u32_e32 v6, s33, v4
	v_cndmask_b32_e32 v4, v4, v6, vcc
	v_ashrrev_i32_e32 v6, 31, v5
	v_lshlrev_b64 v[15:16], 1, v[5:6]
	v_add_u32_e32 v18, 1, v17
	v_mad_u64_u32 v[6:7], s[4:5], s30, v7, v[15:16]
	v_cmp_le_u32_e32 vcc, s33, v4
	v_cndmask_b32_e32 v4, v17, v18, vcc
	v_xor_b32_e32 v4, v4, v9
	v_sub_u32_e32 v9, v4, v9
	v_ashrrev_i32_e32 v4, 31, v3
	v_add3_u32 v15, v19, v7, v8
	v_lshlrev_b64 v[7:8], 1, v[3:4]
	v_mul_lo_u32 v4, s14, v15
	v_mad_u64_u32 v[7:8], s[4:5], s14, v6, v[7:8]
	v_mul_lo_u32 v6, s15, v6
	v_add_u32_e32 v9, 1, v9
	v_min_i32_e32 v15, s14, v9
	v_mul_lo_u32 v9, s19, v3
	v_add3_u32 v4, v6, v8, v4
	v_mov_b32_e32 v8, s29
	v_add_co_u32_e32 v6, vcc, s28, v7
	v_cmp_lt_i32_e64 s[4:5], v3, v15
	v_addc_co_u32_e32 v7, vcc, v8, v4, vcc
	v_add_u32_e32 v16, s13, v9
	v_add_u32_e32 v17, s55, v9
	v_sub_u32_e32 v18, s21, v9
	v_mov_b32_e32 v4, 0
	s_branch .LBB21_20
.LBB21_18:                              ;   in Loop: Header=BB21_20 Depth=2
	s_or_b64 exec, exec, s[46:47]
.LBB21_19:                              ;   in Loop: Header=BB21_20 Depth=2
	s_or_b64 exec, exec, s[44:45]
	v_add_u32_e32 v5, 1, v5
	v_cmp_ge_i32_e32 vcc, v5, v14
	v_mov_b32_e32 v8, s35
	s_or_b64 s[42:43], vcc, s[42:43]
	v_add_co_u32_e32 v6, vcc, s34, v6
	v_addc_co_u32_e32 v7, vcc, v7, v8, vcc
	s_andn2_b64 exec, exec, s[42:43]
	s_cbranch_execz .LBB21_2
.LBB21_20:                              ;   Parent Loop BB21_4 Depth=1
                                        ; =>  This Loop Header: Depth=2
                                        ;       Child Loop BB21_23 Depth 3
	s_and_saveexec_b64 s[44:45], s[4:5]
	s_cbranch_execz .LBB21_19
; %bb.21:                               ;   in Loop: Header=BB21_20 Depth=2
	v_mul_lo_u32 v8, v5, s18
	s_mov_b64 s[46:47], 0
	v_mov_b32_e32 v22, v17
	v_mov_b32_e32 v23, v16
	v_subrev_u32_e32 v8, s20, v8
	v_add_u32_e32 v9, s16, v8
	v_min_i32_e32 v9, s50, v9
	v_max_i32_e32 v20, 0, v8
	v_min_i32_e32 v21, s8, v9
	v_sub_u32_e32 v19, v9, v8
	v_mov_b32_e32 v9, v7
	v_cmp_gt_i32_e64 s[6:7], v21, v20
	v_sub_u32_e32 v20, v21, v20
	v_mov_b32_e32 v21, v18
	v_mov_b32_e32 v8, v6
	;; [unrolled: 1-line block ×3, first 2 shown]
	s_branch .LBB21_23
.LBB21_22:                              ;   in Loop: Header=BB21_23 Depth=3
	s_or_b64 exec, exec, s[48:49]
	v_add_co_u32_e32 v8, vcc, 2, v8
	v_add_u32_e32 v24, 1, v24
	v_addc_co_u32_e32 v9, vcc, 0, v9, vcc
	v_cmp_ge_i32_e32 vcc, v24, v15
	v_add_u32_e32 v23, s19, v23
	v_add_u32_e32 v22, s19, v22
	s_or_b64 s[46:47], vcc, s[46:47]
	v_subrev_u32_e32 v21, s19, v21
	s_andn2_b64 exec, exec, s[46:47]
	s_cbranch_execz .LBB21_18
.LBB21_23:                              ;   Parent Loop BB21_4 Depth=1
                                        ;     Parent Loop BB21_20 Depth=2
                                        ; =>    This Inner Loop Header: Depth=3
	v_add_u32_e32 v26, s17, v23
	v_mov_b32_e32 v27, s10
	v_max_i32_e32 v25, 0, v23
	v_min3_i32 v26, v26, s51, v27
	v_cmp_gt_i32_e32 vcc, v26, v25
	s_and_b64 s[58:59], s[6:7], vcc
	s_and_saveexec_b64 s[48:49], s[58:59]
	s_cbranch_execz .LBB21_22
; %bb.24:                               ;   in Loop: Header=BB21_23 Depth=3
	global_load_ushort v27, v[8:9], off
	v_min_i32_e32 v28, s51, v22
	v_sub_u32_e32 v25, v26, v25
	v_add_u32_e32 v26, v28, v21
	v_mul_lo_u32 v25, v25, v20
	v_mul_lo_u32 v26, v26, v19
	v_mov_b32_e32 v28, s26
	v_cndmask_b32_e64 v25, v25, v26, s[0:1]
	v_cndmask_b32_e64 v25, v25, v28, s[2:3]
	v_cvt_f32_i32_e32 v25, v25
	v_bfe_u32 v26, v25, 16, 1
	v_add3_u32 v25, v25, v26, s56
	v_and_b32_e32 v25, 0xffff0000, v25
	s_waitcnt vmcnt(0)
	v_lshlrev_b32_e32 v26, 16, v27
	v_div_scale_f32 v27, s[58:59], v25, v25, v26
	v_div_scale_f32 v28, vcc, v26, v25, v26
	v_rcp_f32_e32 v29, v27
	v_fma_f32 v30, -v27, v29, 1.0
	v_fmac_f32_e32 v29, v30, v29
	v_mul_f32_e32 v30, v28, v29
	v_fma_f32 v31, -v27, v30, v28
	v_fmac_f32_e32 v30, v31, v29
	v_fma_f32 v27, -v27, v30, v28
	v_div_fmas_f32 v27, v27, v29, v30
	v_div_fixup_f32 v25, v27, v25, v26
	v_bfe_u32 v26, v25, 16, 1
	v_add3_u32 v26, v25, v26, s56
	v_and_b32_e32 v26, 0xffff0000, v26
	v_cmp_o_f32_e32 vcc, v25, v25
	v_cndmask_b32_e32 v25, v12, v26, vcc
	v_add_f32_e32 v4, v4, v25
	s_branch .LBB21_22
.LBB21_25:
	s_endpgm
	.section	.rodata,"a",@progbits
	.p2align	6, 0x0
	.amdhsa_kernel _ZN2at6native12_GLOBAL__N_134avg_pool2d_backward_out_cuda_frameIN3c108BFloat16EfiEEvT1_PKT_llllliiiiiiPS6_ibb
		.amdhsa_group_segment_fixed_size 0
		.amdhsa_private_segment_fixed_size 0
		.amdhsa_kernarg_size 352
		.amdhsa_user_sgpr_count 6
		.amdhsa_user_sgpr_private_segment_buffer 1
		.amdhsa_user_sgpr_dispatch_ptr 0
		.amdhsa_user_sgpr_queue_ptr 0
		.amdhsa_user_sgpr_kernarg_segment_ptr 1
		.amdhsa_user_sgpr_dispatch_id 0
		.amdhsa_user_sgpr_flat_scratch_init 0
		.amdhsa_user_sgpr_private_segment_size 0
		.amdhsa_uses_dynamic_stack 0
		.amdhsa_system_sgpr_private_segment_wavefront_offset 0
		.amdhsa_system_sgpr_workgroup_id_x 1
		.amdhsa_system_sgpr_workgroup_id_y 0
		.amdhsa_system_sgpr_workgroup_id_z 0
		.amdhsa_system_sgpr_workgroup_info 0
		.amdhsa_system_vgpr_workitem_id 0
		.amdhsa_next_free_vgpr 32
		.amdhsa_next_free_sgpr 60
		.amdhsa_reserve_vcc 1
		.amdhsa_reserve_flat_scratch 0
		.amdhsa_float_round_mode_32 0
		.amdhsa_float_round_mode_16_64 0
		.amdhsa_float_denorm_mode_32 3
		.amdhsa_float_denorm_mode_16_64 3
		.amdhsa_dx10_clamp 1
		.amdhsa_ieee_mode 1
		.amdhsa_fp16_overflow 0
		.amdhsa_exception_fp_ieee_invalid_op 0
		.amdhsa_exception_fp_denorm_src 0
		.amdhsa_exception_fp_ieee_div_zero 0
		.amdhsa_exception_fp_ieee_overflow 0
		.amdhsa_exception_fp_ieee_underflow 0
		.amdhsa_exception_fp_ieee_inexact 0
		.amdhsa_exception_int_div_zero 0
	.end_amdhsa_kernel
	.section	.text._ZN2at6native12_GLOBAL__N_134avg_pool2d_backward_out_cuda_frameIN3c108BFloat16EfiEEvT1_PKT_llllliiiiiiPS6_ibb,"axG",@progbits,_ZN2at6native12_GLOBAL__N_134avg_pool2d_backward_out_cuda_frameIN3c108BFloat16EfiEEvT1_PKT_llllliiiiiiPS6_ibb,comdat
.Lfunc_end21:
	.size	_ZN2at6native12_GLOBAL__N_134avg_pool2d_backward_out_cuda_frameIN3c108BFloat16EfiEEvT1_PKT_llllliiiiiiPS6_ibb, .Lfunc_end21-_ZN2at6native12_GLOBAL__N_134avg_pool2d_backward_out_cuda_frameIN3c108BFloat16EfiEEvT1_PKT_llllliiiiiiPS6_ibb
                                        ; -- End function
	.set _ZN2at6native12_GLOBAL__N_134avg_pool2d_backward_out_cuda_frameIN3c108BFloat16EfiEEvT1_PKT_llllliiiiiiPS6_ibb.num_vgpr, 32
	.set _ZN2at6native12_GLOBAL__N_134avg_pool2d_backward_out_cuda_frameIN3c108BFloat16EfiEEvT1_PKT_llllliiiiiiPS6_ibb.num_agpr, 0
	.set _ZN2at6native12_GLOBAL__N_134avg_pool2d_backward_out_cuda_frameIN3c108BFloat16EfiEEvT1_PKT_llllliiiiiiPS6_ibb.numbered_sgpr, 60
	.set _ZN2at6native12_GLOBAL__N_134avg_pool2d_backward_out_cuda_frameIN3c108BFloat16EfiEEvT1_PKT_llllliiiiiiPS6_ibb.num_named_barrier, 0
	.set _ZN2at6native12_GLOBAL__N_134avg_pool2d_backward_out_cuda_frameIN3c108BFloat16EfiEEvT1_PKT_llllliiiiiiPS6_ibb.private_seg_size, 0
	.set _ZN2at6native12_GLOBAL__N_134avg_pool2d_backward_out_cuda_frameIN3c108BFloat16EfiEEvT1_PKT_llllliiiiiiPS6_ibb.uses_vcc, 1
	.set _ZN2at6native12_GLOBAL__N_134avg_pool2d_backward_out_cuda_frameIN3c108BFloat16EfiEEvT1_PKT_llllliiiiiiPS6_ibb.uses_flat_scratch, 0
	.set _ZN2at6native12_GLOBAL__N_134avg_pool2d_backward_out_cuda_frameIN3c108BFloat16EfiEEvT1_PKT_llllliiiiiiPS6_ibb.has_dyn_sized_stack, 0
	.set _ZN2at6native12_GLOBAL__N_134avg_pool2d_backward_out_cuda_frameIN3c108BFloat16EfiEEvT1_PKT_llllliiiiiiPS6_ibb.has_recursion, 0
	.set _ZN2at6native12_GLOBAL__N_134avg_pool2d_backward_out_cuda_frameIN3c108BFloat16EfiEEvT1_PKT_llllliiiiiiPS6_ibb.has_indirect_call, 0
	.section	.AMDGPU.csdata,"",@progbits
; Kernel info:
; codeLenInByte = 2820
; TotalNumSgprs: 64
; NumVgprs: 32
; ScratchSize: 0
; MemoryBound: 0
; FloatMode: 240
; IeeeMode: 1
; LDSByteSize: 0 bytes/workgroup (compile time only)
; SGPRBlocks: 7
; VGPRBlocks: 7
; NumSGPRsForWavesPerEU: 64
; NumVGPRsForWavesPerEU: 32
; Occupancy: 8
; WaveLimiterHint : 0
; COMPUTE_PGM_RSRC2:SCRATCH_EN: 0
; COMPUTE_PGM_RSRC2:USER_SGPR: 6
; COMPUTE_PGM_RSRC2:TRAP_HANDLER: 0
; COMPUTE_PGM_RSRC2:TGID_X_EN: 1
; COMPUTE_PGM_RSRC2:TGID_Y_EN: 0
; COMPUTE_PGM_RSRC2:TGID_Z_EN: 0
; COMPUTE_PGM_RSRC2:TIDIG_COMP_CNT: 0
	.section	.text._ZN2at6native12_GLOBAL__N_139avg_pool2d_backward_out_cuda_frame_nhwcIN3c108BFloat16EflEEvT1_PKT_llliiiiiiiiPS6_ibb,"axG",@progbits,_ZN2at6native12_GLOBAL__N_139avg_pool2d_backward_out_cuda_frame_nhwcIN3c108BFloat16EflEEvT1_PKT_llliiiiiiiiPS6_ibb,comdat
	.globl	_ZN2at6native12_GLOBAL__N_139avg_pool2d_backward_out_cuda_frame_nhwcIN3c108BFloat16EflEEvT1_PKT_llliiiiiiiiPS6_ibb ; -- Begin function _ZN2at6native12_GLOBAL__N_139avg_pool2d_backward_out_cuda_frame_nhwcIN3c108BFloat16EflEEvT1_PKT_llliiiiiiiiPS6_ibb
	.p2align	8
	.type	_ZN2at6native12_GLOBAL__N_139avg_pool2d_backward_out_cuda_frame_nhwcIN3c108BFloat16EflEEvT1_PKT_llliiiiiiiiPS6_ibb,@function
_ZN2at6native12_GLOBAL__N_139avg_pool2d_backward_out_cuda_frame_nhwcIN3c108BFloat16EflEEvT1_PKT_llliiiiiiiiPS6_ibb: ; @_ZN2at6native12_GLOBAL__N_139avg_pool2d_backward_out_cuda_frame_nhwcIN3c108BFloat16EflEEvT1_PKT_llliiiiiiiiPS6_ibb
; %bb.0:
	s_load_dword s0, s[4:5], 0x64
	s_load_dwordx8 s[8:15], s[4:5], 0x0
	s_add_u32 s30, s4, 0x58
	v_mov_b32_e32 v2, 0
	s_addc_u32 s31, s5, 0
	s_waitcnt lgkmcnt(0)
	s_and_b32 s7, s0, 0xffff
	v_mov_b32_e32 v1, v2
	v_mov_b32_e32 v3, s6
	v_mad_u64_u32 v[0:1], s[0:1], s7, v3, v[0:1]
	v_cmp_gt_i64_e32 vcc, s[8:9], v[0:1]
	s_and_saveexec_b64 s[0:1], vcc
	s_cbranch_execz .LBB22_29
; %bb.1:
	s_load_dwordx4 s[24:27], s[4:5], 0x48
	s_load_dword s2, s[4:5], 0x54
	s_load_dwordx2 s[28:29], s[4:5], 0x20
	s_load_dwordx8 s[16:23], s[4:5], 0x28
	s_movk_i32 s55, 0x7fff
	s_waitcnt lgkmcnt(0)
	s_bitcmp1_b32 s27, 0
	s_cselect_b64 s[0:1], -1, 0
	s_bitcmp1_b32 s2, 8
	s_cselect_b64 s[2:3], -1, 0
	s_ashr_i32 s5, s16, 31
	s_mul_hi_u32 s27, s12, s16
	s_mul_i32 s5, s12, s5
	s_load_dword s4, s[30:31], 0x0
	s_ashr_i32 s6, s17, 31
	s_add_i32 s5, s27, s5
	s_mul_i32 s27, s13, s16
	s_mul_i32 s30, s12, s16
	s_add_i32 s5, s5, s27
	s_mul_i32 s6, s30, s6
	s_mul_hi_u32 s27, s30, s17
	s_add_i32 s6, s27, s6
	s_abs_i32 s27, s20
	v_cvt_f32_u32_e32 v3, s27
	s_abs_i32 s33, s21
	v_cvt_f32_u32_e32 v4, s33
	s_mul_i32 s5, s5, s17
	v_rcp_iflag_f32_e32 v3, v3
	s_add_i32 s46, s6, s5
	v_rcp_iflag_f32_e32 v4, v4
	s_sub_i32 s5, 0, s27
	v_mul_f32_e32 v3, 0x4f7ffffe, v3
	v_cvt_u32_f32_e32 v3, v3
	v_mul_f32_e32 v4, 0x4f7ffffe, v4
	v_cvt_u32_f32_e32 v4, v4
	s_mul_i32 s47, s30, s17
	v_mul_lo_u32 v5, s5, v3
	s_sub_i32 s5, 0, s33
	v_mul_lo_u32 v6, s5, v4
	s_add_i32 s48, s22, s14
	v_mul_hi_u32 v5, v3, v5
	s_add_i32 s49, s23, s28
	v_mul_hi_u32 v6, v4, v6
	s_waitcnt lgkmcnt(0)
	s_mul_i32 s50, s4, s7
	s_ashr_i32 s51, s20, 31
	v_add_u32_e32 v10, v3, v5
	s_ashr_i32 s52, s21, 31
	v_add_u32_e32 v11, v4, v6
	s_sub_i32 s53, 0, s23
	s_sub_i32 s54, s19, s23
	s_mov_b64 s[30:31], 0
	s_ashr_i32 s34, s13, 31
	v_mov_b32_e32 v12, 0x7fc00000
	v_mov_b32_e32 v13, 0x7fc0
	s_branch .LBB22_4
.LBB22_2:                               ;   in Loop: Header=BB22_4 Depth=1
	s_or_b64 exec, exec, s[38:39]
.LBB22_3:                               ;   in Loop: Header=BB22_4 Depth=1
	s_or_b64 exec, exec, s[36:37]
	v_bfe_u32 v4, v3, 16, 1
	v_add3_u32 v4, v3, v4, s55
	v_cmp_o_f32_e32 vcc, v3, v3
	v_cndmask_b32_sdwa v5, v13, v4, vcc dst_sel:DWORD dst_unused:UNUSED_PAD src0_sel:DWORD src1_sel:WORD_1
	v_lshlrev_b64 v[3:4], 1, v[0:1]
	v_add_co_u32_e32 v0, vcc, s50, v0
	v_addc_co_u32_e32 v1, vcc, 0, v1, vcc
	v_cmp_le_i64_e32 vcc, s[8:9], v[0:1]
	v_mov_b32_e32 v6, s25
	v_add_co_u32_e64 v3, s[4:5], s24, v3
	v_addc_co_u32_e64 v4, s[4:5], v6, v4, s[4:5]
	s_or_b64 s[30:31], vcc, s[30:31]
	global_store_short v[3:4], v5, off
	s_andn2_b64 exec, exec, s[30:31]
	s_cbranch_execz .LBB22_29
.LBB22_4:                               ; =>This Loop Header: Depth=1
                                        ;     Child Loop BB22_24 Depth 2
                                        ;       Child Loop BB22_27 Depth 3
	v_or_b32_e32 v3, s13, v1
	v_cmp_ne_u64_e32 vcc, 0, v[2:3]
                                        ; implicit-def: $vgpr4_vgpr5
	s_and_saveexec_b64 s[4:5], vcc
	s_xor_b64 s[6:7], exec, s[4:5]
	s_cbranch_execz .LBB22_6
; %bb.5:                                ;   in Loop: Header=BB22_4 Depth=1
	s_add_u32 s4, s12, s34
	s_mov_b32 s35, s34
	s_addc_u32 s5, s13, s34
	s_xor_b64 s[36:37], s[4:5], s[34:35]
	v_cvt_f32_u32_e32 v3, s36
	v_cvt_f32_u32_e32 v4, s37
	s_sub_u32 s35, 0, s36
	s_subb_u32 s38, 0, s37
	v_ashrrev_i32_e32 v7, 31, v1
	v_mac_f32_e32 v3, 0x4f800000, v4
	v_rcp_f32_e32 v3, v3
	v_mul_f32_e32 v3, 0x5f7ffffc, v3
	v_mul_f32_e32 v4, 0x2f800000, v3
	v_trunc_f32_e32 v4, v4
	v_mac_f32_e32 v3, 0xcf800000, v4
	v_cvt_u32_f32_e32 v4, v4
	v_cvt_u32_f32_e32 v3, v3
	v_readfirstlane_b32 s39, v4
	v_readfirstlane_b32 s4, v3
	s_mul_i32 s5, s35, s39
	s_mul_hi_u32 s41, s35, s4
	s_mul_i32 s40, s38, s4
	s_add_i32 s5, s41, s5
	s_add_i32 s5, s5, s40
	s_mul_i32 s42, s35, s4
	s_mul_i32 s41, s4, s5
	s_mul_hi_u32 s43, s4, s42
	s_mul_hi_u32 s40, s4, s5
	s_add_u32 s41, s43, s41
	s_addc_u32 s40, 0, s40
	s_mul_hi_u32 s44, s39, s42
	s_mul_i32 s42, s39, s42
	s_add_u32 s41, s41, s42
	s_mul_hi_u32 s43, s39, s5
	s_addc_u32 s40, s40, s44
	s_addc_u32 s41, s43, 0
	s_mul_i32 s5, s39, s5
	s_add_u32 s5, s40, s5
	s_addc_u32 s40, 0, s41
	s_add_u32 s41, s4, s5
	s_cselect_b64 s[4:5], -1, 0
	s_cmp_lg_u64 s[4:5], 0
	s_addc_u32 s39, s39, s40
	s_mul_i32 s4, s35, s39
	s_mul_hi_u32 s5, s35, s41
	s_add_i32 s4, s5, s4
	s_mul_i32 s38, s38, s41
	s_add_i32 s4, s4, s38
	s_mul_i32 s35, s35, s41
	s_mul_hi_u32 s38, s39, s35
	s_mul_i32 s40, s39, s35
	s_mul_i32 s43, s41, s4
	s_mul_hi_u32 s35, s41, s35
	s_mul_hi_u32 s42, s41, s4
	s_add_u32 s35, s35, s43
	s_addc_u32 s42, 0, s42
	s_add_u32 s35, s35, s40
	s_mul_hi_u32 s5, s39, s4
	s_addc_u32 s35, s42, s38
	s_addc_u32 s5, s5, 0
	s_mul_i32 s4, s39, s4
	s_add_u32 s4, s35, s4
	s_addc_u32 s35, 0, s5
	s_add_u32 s38, s41, s4
	s_cselect_b64 s[4:5], -1, 0
	s_cmp_lg_u64 s[4:5], 0
	v_add_co_u32_e32 v3, vcc, v0, v7
	s_addc_u32 s35, s39, s35
	v_xor_b32_e32 v8, v3, v7
	v_mad_u64_u32 v[3:4], s[4:5], v8, s35, 0
	v_mul_hi_u32 v6, v8, s38
	v_addc_co_u32_e32 v5, vcc, v1, v7, vcc
	v_xor_b32_e32 v9, v5, v7
	v_add_co_u32_e32 v14, vcc, v6, v3
	v_addc_co_u32_e32 v15, vcc, 0, v4, vcc
	v_mad_u64_u32 v[3:4], s[4:5], v9, s38, 0
	v_mad_u64_u32 v[5:6], s[4:5], v9, s35, 0
	v_add_co_u32_e32 v3, vcc, v14, v3
	v_addc_co_u32_e32 v3, vcc, v15, v4, vcc
	v_addc_co_u32_e32 v4, vcc, 0, v6, vcc
	v_add_co_u32_e32 v5, vcc, v3, v5
	v_addc_co_u32_e32 v6, vcc, 0, v4, vcc
	v_mul_lo_u32 v14, s37, v5
	v_mul_lo_u32 v15, s36, v6
	v_mad_u64_u32 v[3:4], s[4:5], s36, v5, 0
	v_add3_u32 v4, v4, v15, v14
	v_sub_u32_e32 v14, v9, v4
	v_mov_b32_e32 v15, s37
	v_sub_co_u32_e32 v3, vcc, v8, v3
	v_subb_co_u32_e64 v8, s[4:5], v14, v15, vcc
	v_subrev_co_u32_e64 v14, s[4:5], s36, v3
	v_subbrev_co_u32_e64 v8, s[4:5], 0, v8, s[4:5]
	v_cmp_le_u32_e64 s[4:5], s37, v8
	v_cndmask_b32_e64 v15, 0, -1, s[4:5]
	v_cmp_le_u32_e64 s[4:5], s36, v14
	v_cndmask_b32_e64 v14, 0, -1, s[4:5]
	v_cmp_eq_u32_e64 s[4:5], s37, v8
	v_cndmask_b32_e64 v8, v15, v14, s[4:5]
	v_add_co_u32_e64 v14, s[4:5], 2, v5
	v_subb_co_u32_e32 v4, vcc, v9, v4, vcc
	v_addc_co_u32_e64 v15, s[4:5], 0, v6, s[4:5]
	v_cmp_le_u32_e32 vcc, s37, v4
	v_add_co_u32_e64 v16, s[4:5], 1, v5
	v_cndmask_b32_e64 v9, 0, -1, vcc
	v_cmp_le_u32_e32 vcc, s36, v3
	v_addc_co_u32_e64 v17, s[4:5], 0, v6, s[4:5]
	v_cndmask_b32_e64 v3, 0, -1, vcc
	v_cmp_eq_u32_e32 vcc, s37, v4
	v_cmp_ne_u32_e64 s[4:5], 0, v8
	v_cndmask_b32_e32 v3, v9, v3, vcc
	v_cmp_ne_u32_e32 vcc, 0, v3
	v_cndmask_b32_e64 v4, v16, v14, s[4:5]
	v_cndmask_b32_e64 v8, v17, v15, s[4:5]
	v_cndmask_b32_e32 v4, v5, v4, vcc
	v_xor_b32_e32 v5, s34, v7
	v_cndmask_b32_e32 v3, v6, v8, vcc
	v_xor_b32_e32 v4, v4, v5
	v_xor_b32_e32 v3, v3, v5
	v_sub_co_u32_e32 v4, vcc, v4, v5
	v_subb_co_u32_e32 v5, vcc, v3, v5, vcc
.LBB22_6:                               ;   in Loop: Header=BB22_4 Depth=1
	s_andn2_saveexec_b64 s[4:5], s[6:7]
	s_cbranch_execz .LBB22_8
; %bb.7:                                ;   in Loop: Header=BB22_4 Depth=1
	v_cvt_f32_u32_e32 v3, s12
	s_sub_i32 s6, 0, s12
	v_rcp_iflag_f32_e32 v3, v3
	v_mul_f32_e32 v3, 0x4f7ffffe, v3
	v_cvt_u32_f32_e32 v3, v3
	v_mul_lo_u32 v4, s6, v3
	v_mul_hi_u32 v4, v3, v4
	v_add_u32_e32 v3, v3, v4
	v_mul_hi_u32 v3, v0, v3
	v_mul_lo_u32 v4, v3, s12
	v_add_u32_e32 v5, 1, v3
	v_sub_u32_e32 v4, v0, v4
	v_subrev_u32_e32 v6, s12, v4
	v_cmp_le_u32_e32 vcc, s12, v4
	v_cndmask_b32_e32 v4, v4, v6, vcc
	v_cndmask_b32_e32 v3, v3, v5, vcc
	v_add_u32_e32 v5, 1, v3
	v_cmp_le_u32_e32 vcc, s12, v4
	v_cndmask_b32_e32 v4, v3, v5, vcc
	v_mov_b32_e32 v5, v2
.LBB22_8:                               ;   in Loop: Header=BB22_4 Depth=1
	s_or_b64 exec, exec, s[4:5]
	v_or_b32_e32 v3, s29, v5
	v_cmp_ne_u64_e32 vcc, 0, v[2:3]
                                        ; implicit-def: $vgpr6_vgpr7
	s_and_saveexec_b64 s[4:5], vcc
	s_xor_b64 s[6:7], exec, s[4:5]
	s_cbranch_execz .LBB22_10
; %bb.9:                                ;   in Loop: Header=BB22_4 Depth=1
	s_ashr_i32 s36, s29, 31
	s_add_u32 s4, s28, s36
	s_mov_b32 s37, s36
	s_addc_u32 s5, s29, s36
	s_xor_b64 s[38:39], s[4:5], s[36:37]
	v_cvt_f32_u32_e32 v3, s38
	v_cvt_f32_u32_e32 v6, s39
	s_sub_u32 s35, 0, s38
	s_subb_u32 s37, 0, s39
	v_mac_f32_e32 v3, 0x4f800000, v6
	v_rcp_f32_e32 v3, v3
	v_mul_f32_e32 v3, 0x5f7ffffc, v3
	v_mul_f32_e32 v6, 0x2f800000, v3
	v_trunc_f32_e32 v6, v6
	v_mac_f32_e32 v3, 0xcf800000, v6
	v_cvt_u32_f32_e32 v6, v6
	v_cvt_u32_f32_e32 v3, v3
	v_readfirstlane_b32 s40, v6
	v_readfirstlane_b32 s4, v3
	s_mul_i32 s5, s35, s40
	s_mul_hi_u32 s42, s35, s4
	s_mul_i32 s41, s37, s4
	s_add_i32 s5, s42, s5
	s_add_i32 s5, s5, s41
	s_mul_i32 s43, s35, s4
	s_mul_i32 s42, s4, s5
	s_mul_hi_u32 s44, s4, s43
	s_mul_hi_u32 s41, s4, s5
	s_add_u32 s42, s44, s42
	s_addc_u32 s41, 0, s41
	s_mul_hi_u32 s45, s40, s43
	s_mul_i32 s43, s40, s43
	s_add_u32 s42, s42, s43
	s_mul_hi_u32 s44, s40, s5
	s_addc_u32 s41, s41, s45
	s_addc_u32 s42, s44, 0
	s_mul_i32 s5, s40, s5
	s_add_u32 s5, s41, s5
	s_addc_u32 s41, 0, s42
	s_add_u32 s42, s4, s5
	s_cselect_b64 s[4:5], -1, 0
	s_cmp_lg_u64 s[4:5], 0
	s_addc_u32 s40, s40, s41
	s_mul_i32 s4, s35, s40
	s_mul_hi_u32 s5, s35, s42
	s_add_i32 s4, s5, s4
	s_mul_i32 s37, s37, s42
	s_add_i32 s4, s4, s37
	s_mul_i32 s35, s35, s42
	s_mul_hi_u32 s37, s40, s35
	s_mul_i32 s41, s40, s35
	s_mul_i32 s44, s42, s4
	s_mul_hi_u32 s35, s42, s35
	s_mul_hi_u32 s43, s42, s4
	s_add_u32 s35, s35, s44
	s_addc_u32 s43, 0, s43
	s_add_u32 s35, s35, s41
	s_mul_hi_u32 s5, s40, s4
	s_addc_u32 s35, s43, s37
	s_addc_u32 s5, s5, 0
	s_mul_i32 s4, s40, s4
	s_add_u32 s4, s35, s4
	s_addc_u32 s35, 0, s5
	s_add_u32 s37, s42, s4
	s_cselect_b64 s[4:5], -1, 0
	v_ashrrev_i32_e32 v3, 31, v5
	s_cmp_lg_u64 s[4:5], 0
	v_add_co_u32_e32 v6, vcc, v4, v3
	s_addc_u32 s35, s40, s35
	v_xor_b32_e32 v9, v6, v3
	v_addc_co_u32_e32 v7, vcc, v5, v3, vcc
	v_mad_u64_u32 v[5:6], s[4:5], v9, s35, 0
	v_mul_hi_u32 v8, v9, s37
	v_xor_b32_e32 v14, v7, v3
	v_xor_b32_e32 v3, s36, v3
	v_add_co_u32_e32 v15, vcc, v8, v5
	v_addc_co_u32_e32 v16, vcc, 0, v6, vcc
	v_mad_u64_u32 v[5:6], s[4:5], v14, s37, 0
	v_mad_u64_u32 v[7:8], s[4:5], v14, s35, 0
	v_add_co_u32_e32 v5, vcc, v15, v5
	v_addc_co_u32_e32 v5, vcc, v16, v6, vcc
	v_addc_co_u32_e32 v6, vcc, 0, v8, vcc
	v_add_co_u32_e32 v7, vcc, v5, v7
	v_addc_co_u32_e32 v8, vcc, 0, v6, vcc
	v_mul_lo_u32 v15, s39, v7
	v_mul_lo_u32 v16, s38, v8
	v_mad_u64_u32 v[5:6], s[4:5], s38, v7, 0
	v_add3_u32 v6, v6, v16, v15
	v_sub_u32_e32 v15, v14, v6
	v_mov_b32_e32 v16, s39
	v_sub_co_u32_e32 v5, vcc, v9, v5
	v_subb_co_u32_e64 v9, s[4:5], v15, v16, vcc
	v_subrev_co_u32_e64 v15, s[4:5], s38, v5
	v_subbrev_co_u32_e64 v9, s[4:5], 0, v9, s[4:5]
	v_cmp_le_u32_e64 s[4:5], s39, v9
	v_cndmask_b32_e64 v16, 0, -1, s[4:5]
	v_cmp_le_u32_e64 s[4:5], s38, v15
	v_cndmask_b32_e64 v15, 0, -1, s[4:5]
	v_cmp_eq_u32_e64 s[4:5], s39, v9
	v_cndmask_b32_e64 v9, v16, v15, s[4:5]
	v_add_co_u32_e64 v15, s[4:5], 2, v7
	v_subb_co_u32_e32 v6, vcc, v14, v6, vcc
	v_addc_co_u32_e64 v16, s[4:5], 0, v8, s[4:5]
	v_cmp_le_u32_e32 vcc, s39, v6
	v_add_co_u32_e64 v17, s[4:5], 1, v7
	v_cndmask_b32_e64 v14, 0, -1, vcc
	v_cmp_le_u32_e32 vcc, s38, v5
	v_addc_co_u32_e64 v18, s[4:5], 0, v8, s[4:5]
	v_cndmask_b32_e64 v5, 0, -1, vcc
	v_cmp_eq_u32_e32 vcc, s39, v6
	v_cmp_ne_u32_e64 s[4:5], 0, v9
	v_cndmask_b32_e32 v5, v14, v5, vcc
	v_cmp_ne_u32_e32 vcc, 0, v5
	v_cndmask_b32_e64 v6, v17, v15, s[4:5]
	v_cndmask_b32_e64 v9, v18, v16, s[4:5]
	v_cndmask_b32_e32 v6, v7, v6, vcc
	v_cndmask_b32_e32 v5, v8, v9, vcc
	v_xor_b32_e32 v6, v6, v3
	v_xor_b32_e32 v5, v5, v3
	v_sub_co_u32_e32 v6, vcc, v6, v3
	v_subb_co_u32_e32 v7, vcc, v5, v3, vcc
.LBB22_10:                              ;   in Loop: Header=BB22_4 Depth=1
	s_andn2_saveexec_b64 s[4:5], s[6:7]
	s_cbranch_execz .LBB22_12
; %bb.11:                               ;   in Loop: Header=BB22_4 Depth=1
	v_cvt_f32_u32_e32 v3, s28
	s_sub_i32 s6, 0, s28
	v_rcp_iflag_f32_e32 v3, v3
	v_mul_f32_e32 v3, 0x4f7ffffe, v3
	v_cvt_u32_f32_e32 v3, v3
	v_mul_lo_u32 v5, s6, v3
	v_mul_hi_u32 v5, v3, v5
	v_add_u32_e32 v3, v3, v5
	v_mul_hi_u32 v3, v4, v3
	v_mul_lo_u32 v5, v3, s28
	v_add_u32_e32 v6, 1, v3
	v_sub_u32_e32 v5, v4, v5
	v_subrev_u32_e32 v7, s28, v5
	v_cmp_le_u32_e32 vcc, s28, v5
	v_cndmask_b32_e32 v5, v5, v7, vcc
	v_cndmask_b32_e32 v3, v3, v6, vcc
	v_add_u32_e32 v6, 1, v3
	v_cmp_le_u32_e32 vcc, s28, v5
	v_cndmask_b32_e32 v6, v3, v6, vcc
	v_mov_b32_e32 v7, v2
.LBB22_12:                              ;   in Loop: Header=BB22_4 Depth=1
	s_or_b64 exec, exec, s[4:5]
	v_or_b32_e32 v3, s15, v7
	v_cmp_ne_u64_e32 vcc, 0, v[2:3]
                                        ; implicit-def: $vgpr8_vgpr9
	s_and_saveexec_b64 s[4:5], vcc
	s_xor_b64 s[6:7], exec, s[4:5]
	s_cbranch_execz .LBB22_14
; %bb.13:                               ;   in Loop: Header=BB22_4 Depth=1
	s_ashr_i32 s36, s15, 31
	s_add_u32 s4, s14, s36
	s_mov_b32 s37, s36
	s_addc_u32 s5, s15, s36
	s_xor_b64 s[38:39], s[4:5], s[36:37]
	v_cvt_f32_u32_e32 v3, s38
	v_cvt_f32_u32_e32 v5, s39
	s_sub_u32 s35, 0, s38
	s_subb_u32 s37, 0, s39
	v_mac_f32_e32 v3, 0x4f800000, v5
	v_rcp_f32_e32 v3, v3
	v_mul_f32_e32 v3, 0x5f7ffffc, v3
	v_mul_f32_e32 v5, 0x2f800000, v3
	v_trunc_f32_e32 v5, v5
	v_mac_f32_e32 v3, 0xcf800000, v5
	v_cvt_u32_f32_e32 v5, v5
	v_cvt_u32_f32_e32 v3, v3
	v_readfirstlane_b32 s40, v5
	v_readfirstlane_b32 s4, v3
	s_mul_i32 s5, s35, s40
	s_mul_hi_u32 s42, s35, s4
	s_mul_i32 s41, s37, s4
	s_add_i32 s5, s42, s5
	s_add_i32 s5, s5, s41
	s_mul_i32 s43, s35, s4
	s_mul_i32 s42, s4, s5
	s_mul_hi_u32 s44, s4, s43
	s_mul_hi_u32 s41, s4, s5
	s_add_u32 s42, s44, s42
	s_addc_u32 s41, 0, s41
	s_mul_hi_u32 s45, s40, s43
	s_mul_i32 s43, s40, s43
	s_add_u32 s42, s42, s43
	s_mul_hi_u32 s44, s40, s5
	s_addc_u32 s41, s41, s45
	s_addc_u32 s42, s44, 0
	s_mul_i32 s5, s40, s5
	s_add_u32 s5, s41, s5
	s_addc_u32 s41, 0, s42
	s_add_u32 s42, s4, s5
	s_cselect_b64 s[4:5], -1, 0
	s_cmp_lg_u64 s[4:5], 0
	s_addc_u32 s40, s40, s41
	s_mul_i32 s4, s35, s40
	s_mul_hi_u32 s5, s35, s42
	s_add_i32 s4, s5, s4
	s_mul_i32 s37, s37, s42
	s_add_i32 s4, s4, s37
	s_mul_i32 s35, s35, s42
	s_mul_hi_u32 s37, s40, s35
	s_mul_i32 s41, s40, s35
	s_mul_i32 s44, s42, s4
	s_mul_hi_u32 s35, s42, s35
	s_mul_hi_u32 s43, s42, s4
	s_add_u32 s35, s35, s44
	s_addc_u32 s43, 0, s43
	s_add_u32 s35, s35, s41
	s_mul_hi_u32 s5, s40, s4
	s_addc_u32 s35, s43, s37
	s_addc_u32 s5, s5, 0
	s_mul_i32 s4, s40, s4
	s_add_u32 s4, s35, s4
	s_addc_u32 s35, 0, s5
	s_add_u32 s37, s42, s4
	s_cselect_b64 s[4:5], -1, 0
	v_ashrrev_i32_e32 v3, 31, v7
	s_cmp_lg_u64 s[4:5], 0
	v_add_co_u32_e32 v5, vcc, v6, v3
	s_addc_u32 s35, s40, s35
	v_xor_b32_e32 v5, v5, v3
	v_addc_co_u32_e32 v9, vcc, v7, v3, vcc
	v_mad_u64_u32 v[7:8], s[4:5], v5, s35, 0
	v_mul_hi_u32 v14, v5, s37
	v_xor_b32_e32 v9, v9, v3
	v_xor_b32_e32 v3, s36, v3
	v_add_co_u32_e32 v16, vcc, v14, v7
	v_addc_co_u32_e32 v17, vcc, 0, v8, vcc
	v_mad_u64_u32 v[7:8], s[4:5], v9, s37, 0
	v_mad_u64_u32 v[14:15], s[4:5], v9, s35, 0
	v_add_co_u32_e32 v7, vcc, v16, v7
	v_addc_co_u32_e32 v7, vcc, v17, v8, vcc
	v_addc_co_u32_e32 v8, vcc, 0, v15, vcc
	v_add_co_u32_e32 v14, vcc, v7, v14
	v_addc_co_u32_e32 v7, vcc, 0, v8, vcc
	v_mul_lo_u32 v15, s39, v14
	v_mul_lo_u32 v16, s38, v7
	v_mad_u64_u32 v[7:8], s[4:5], s38, v14, 0
	v_add3_u32 v8, v8, v16, v15
	v_sub_u32_e32 v15, v9, v8
	v_mov_b32_e32 v16, s39
	v_sub_co_u32_e32 v5, vcc, v5, v7
	v_subb_co_u32_e64 v7, s[4:5], v15, v16, vcc
	v_subrev_co_u32_e64 v15, s[4:5], s38, v5
	v_subbrev_co_u32_e64 v7, s[4:5], 0, v7, s[4:5]
	v_cmp_le_u32_e64 s[4:5], s39, v7
	v_subb_co_u32_e32 v8, vcc, v9, v8, vcc
	v_cndmask_b32_e64 v16, 0, -1, s[4:5]
	v_cmp_le_u32_e64 s[4:5], s38, v15
	v_cmp_le_u32_e32 vcc, s39, v8
	v_cndmask_b32_e64 v15, 0, -1, s[4:5]
	v_cmp_eq_u32_e64 s[4:5], s39, v7
	v_cndmask_b32_e64 v9, 0, -1, vcc
	v_cmp_le_u32_e32 vcc, s38, v5
	v_cndmask_b32_e64 v7, v16, v15, s[4:5]
	v_cndmask_b32_e64 v5, 0, -1, vcc
	v_cmp_eq_u32_e32 vcc, s39, v8
	v_add_co_u32_e64 v15, s[4:5], 2, v14
	v_add_co_u32_e64 v16, s[4:5], 1, v14
	v_cndmask_b32_e32 v5, v9, v5, vcc
	v_cmp_ne_u32_e32 vcc, 0, v7
	v_cndmask_b32_e32 v7, v16, v15, vcc
	v_cmp_ne_u32_e32 vcc, 0, v5
	v_cndmask_b32_e32 v5, v14, v7, vcc
	v_xor_b32_e32 v5, v5, v3
	v_sub_co_u32_e32 v8, vcc, v5, v3
.LBB22_14:                              ;   in Loop: Header=BB22_4 Depth=1
	s_andn2_saveexec_b64 s[4:5], s[6:7]
	s_cbranch_execz .LBB22_16
; %bb.15:                               ;   in Loop: Header=BB22_4 Depth=1
	v_cvt_f32_u32_e32 v3, s14
	s_sub_i32 s6, 0, s14
	v_rcp_iflag_f32_e32 v3, v3
	v_mul_f32_e32 v3, 0x4f7ffffe, v3
	v_cvt_u32_f32_e32 v3, v3
	v_mul_lo_u32 v5, s6, v3
	v_mul_hi_u32 v5, v3, v5
	v_add_u32_e32 v3, v3, v5
	v_mul_hi_u32 v3, v6, v3
	v_mul_lo_u32 v5, v3, s14
	v_add_u32_e32 v7, 1, v3
	v_sub_u32_e32 v5, v6, v5
	v_subrev_u32_e32 v8, s14, v5
	v_cmp_le_u32_e32 vcc, s14, v5
	v_cndmask_b32_e32 v5, v5, v8, vcc
	v_cndmask_b32_e32 v3, v3, v7, vcc
	v_add_u32_e32 v7, 1, v3
	v_cmp_le_u32_e32 vcc, s14, v5
	v_cndmask_b32_e32 v8, v3, v7, vcc
.LBB22_16:                              ;   in Loop: Header=BB22_4 Depth=1
	s_or_b64 exec, exec, s[4:5]
	v_mul_lo_u32 v3, v8, s14
	v_mov_b32_e32 v5, 0
	v_mov_b32_e32 v7, 0
	v_sub_u32_e32 v3, v6, v3
	v_cmp_le_i32_e32 vcc, s18, v3
	s_and_saveexec_b64 s[4:5], vcc
	s_cbranch_execz .LBB22_18
; %bb.17:                               ;   in Loop: Header=BB22_4 Depth=1
	v_subrev_u32_e32 v7, s18, v3
	v_mul_hi_u32 v9, v7, v10
	v_mul_lo_u32 v14, v9, s27
	v_add_u32_e32 v15, 1, v9
	v_sub_u32_e32 v7, v7, v14
	v_cmp_le_u32_e32 vcc, s27, v7
	v_subrev_u32_e32 v14, s27, v7
	v_cndmask_b32_e32 v9, v9, v15, vcc
	v_cndmask_b32_e32 v7, v7, v14, vcc
	v_add_u32_e32 v14, 1, v9
	v_cmp_le_u32_e32 vcc, s27, v7
	v_cndmask_b32_e32 v7, v9, v14, vcc
	v_xor_b32_e32 v7, s51, v7
	v_subrev_u32_e32 v7, s51, v7
	v_add_u32_e32 v7, 1, v7
.LBB22_18:                              ;   in Loop: Header=BB22_4 Depth=1
	s_or_b64 exec, exec, s[4:5]
	v_mul_lo_u32 v6, v6, s28
	v_sub_u32_e32 v9, v4, v6
	v_cmp_le_i32_e32 vcc, s19, v9
	s_and_saveexec_b64 s[4:5], vcc
	s_cbranch_execz .LBB22_20
; %bb.19:                               ;   in Loop: Header=BB22_4 Depth=1
	v_subrev_u32_e32 v5, s19, v9
	v_mul_hi_u32 v6, v5, v11
	v_mul_lo_u32 v14, v6, s33
	v_add_u32_e32 v15, 1, v6
	v_sub_u32_e32 v5, v5, v14
	v_cmp_le_u32_e32 vcc, s33, v5
	v_subrev_u32_e32 v14, s33, v5
	v_cndmask_b32_e32 v6, v6, v15, vcc
	v_cndmask_b32_e32 v5, v5, v14, vcc
	v_add_u32_e32 v14, 1, v6
	v_cmp_le_u32_e32 vcc, s33, v5
	v_cndmask_b32_e32 v5, v6, v14, vcc
	v_xor_b32_e32 v5, s52, v5
	v_subrev_u32_e32 v5, s52, v5
	v_add_u32_e32 v5, 1, v5
.LBB22_20:                              ;   in Loop: Header=BB22_4 Depth=1
	s_or_b64 exec, exec, s[4:5]
	v_sub_u32_e32 v6, 0, v3
	v_max_i32_e32 v6, v3, v6
	v_mul_hi_u32 v14, v6, v10
	v_ashrrev_i32_e32 v3, 31, v3
	v_xor_b32_e32 v3, s51, v3
	v_mul_lo_u32 v15, v14, s27
	v_add_u32_e32 v16, 1, v14
	v_sub_u32_e32 v6, v6, v15
	v_cmp_le_u32_e32 vcc, s27, v6
	v_subrev_u32_e32 v15, s27, v6
	v_cndmask_b32_e32 v14, v14, v16, vcc
	v_cndmask_b32_e32 v6, v6, v15, vcc
	v_add_u32_e32 v15, 1, v14
	v_cmp_le_u32_e32 vcc, s27, v6
	v_cndmask_b32_e32 v6, v14, v15, vcc
	v_xor_b32_e32 v6, v6, v3
	v_sub_u32_e32 v3, v6, v3
	v_add_u32_e32 v3, 1, v3
	v_min_i32_e32 v6, s16, v3
	v_cmp_lt_i32_e32 vcc, v7, v6
	v_mov_b32_e32 v3, 0
	s_and_saveexec_b64 s[36:37], vcc
	s_cbranch_execz .LBB22_3
; %bb.21:                               ;   in Loop: Header=BB22_4 Depth=1
	v_sub_u32_e32 v3, 0, v9
	v_max_i32_e32 v14, v9, v3
	v_mul_hi_u32 v15, v14, v11
	v_mul_lo_u32 v3, v4, s12
	v_ashrrev_i32_e32 v4, 31, v9
	v_xor_b32_e32 v4, s52, v4
	v_mul_lo_u32 v9, v15, s33
	v_add_u32_e32 v16, 1, v15
	v_sub_u32_e32 v3, v0, v3
	s_mov_b64 s[38:39], 0
	v_sub_u32_e32 v9, v14, v9
	v_cmp_le_u32_e32 vcc, s33, v9
	v_cndmask_b32_e32 v14, v15, v16, vcc
	v_subrev_u32_e32 v15, s33, v9
	v_cndmask_b32_e32 v9, v9, v15, vcc
	v_add_u32_e32 v15, 1, v14
	v_cmp_le_u32_e32 vcc, s33, v9
	v_cndmask_b32_e32 v9, v14, v15, vcc
	v_xor_b32_e32 v14, v9, v4
	v_ashrrev_i32_e32 v9, 31, v8
	v_mul_lo_u32 v15, s46, v8
	v_mul_lo_u32 v16, s47, v9
	v_mad_u64_u32 v[8:9], s[4:5], s47, v8, 0
	v_sub_u32_e32 v4, v14, v4
	v_mov_b32_e32 v14, s11
	v_add3_u32 v9, v9, v16, v15
	v_lshlrev_b64 v[8:9], 1, v[8:9]
	v_add_u32_e32 v4, 1, v4
	v_add_co_u32_e32 v15, vcc, s10, v8
	v_addc_co_u32_e32 v14, vcc, v14, v9, vcc
	v_ashrrev_i64 v[8:9], 31, v[2:3]
	v_mul_lo_u32 v3, s21, v5
	v_add_co_u32_e32 v8, vcc, v15, v8
	v_addc_co_u32_e32 v9, vcc, v14, v9, vcc
	v_mul_lo_u32 v14, s17, v7
	v_min_i32_e32 v4, s17, v4
	v_cmp_lt_i32_e64 s[4:5], v5, v4
	v_add_u32_e32 v15, s53, v3
	v_add_u32_e32 v16, s54, v3
	v_sub_u32_e32 v17, s23, v3
	v_mov_b32_e32 v3, 0
	s_branch .LBB22_24
.LBB22_22:                              ;   in Loop: Header=BB22_24 Depth=2
	s_or_b64 exec, exec, s[42:43]
.LBB22_23:                              ;   in Loop: Header=BB22_24 Depth=2
	s_or_b64 exec, exec, s[40:41]
	v_add_u32_e32 v7, 1, v7
	v_cmp_ge_i32_e32 vcc, v7, v6
	s_or_b64 s[38:39], vcc, s[38:39]
	v_add_u32_e32 v14, s17, v14
	s_andn2_b64 exec, exec, s[38:39]
	s_cbranch_execz .LBB22_2
.LBB22_24:                              ;   Parent Loop BB22_4 Depth=1
                                        ; =>  This Loop Header: Depth=2
                                        ;       Child Loop BB22_27 Depth 3
	s_and_saveexec_b64 s[40:41], s[4:5]
	s_cbranch_execz .LBB22_23
; %bb.25:                               ;   in Loop: Header=BB22_24 Depth=2
	v_mul_lo_u32 v18, v7, s20
	s_mov_b64 s[42:43], 0
	v_mov_b32_e32 v22, v15
	v_mov_b32_e32 v23, v5
	v_subrev_u32_e32 v18, s22, v18
	v_add_u32_e32 v19, s18, v18
	v_min_i32_e32 v19, s48, v19
	v_max_i32_e32 v20, 0, v18
	v_min_i32_e32 v21, s14, v19
	v_sub_u32_e32 v18, v19, v18
	v_cmp_gt_i32_e64 s[6:7], v21, v20
	v_sub_u32_e32 v19, v21, v20
	v_mov_b32_e32 v20, v17
	v_mov_b32_e32 v21, v16
	s_branch .LBB22_27
.LBB22_26:                              ;   in Loop: Header=BB22_27 Depth=3
	s_or_b64 exec, exec, s[44:45]
	v_add_u32_e32 v23, 1, v23
	v_cmp_ge_i32_e32 vcc, v23, v4
	v_add_u32_e32 v22, s21, v22
	v_add_u32_e32 v21, s21, v21
	s_or_b64 s[42:43], vcc, s[42:43]
	v_subrev_u32_e32 v20, s21, v20
	s_andn2_b64 exec, exec, s[42:43]
	s_cbranch_execz .LBB22_22
.LBB22_27:                              ;   Parent Loop BB22_4 Depth=1
                                        ;     Parent Loop BB22_24 Depth=2
                                        ; =>    This Inner Loop Header: Depth=3
	v_add_u32_e32 v25, s19, v22
	v_mov_b32_e32 v26, s28
	v_max_i32_e32 v24, 0, v22
	v_min3_i32 v25, v25, s49, v26
	v_cmp_gt_i32_e32 vcc, v25, v24
	s_and_b64 s[56:57], s[6:7], vcc
	s_and_saveexec_b64 s[44:45], s[56:57]
	s_cbranch_execz .LBB22_26
; %bb.28:                               ;   in Loop: Header=BB22_27 Depth=3
	v_add_u32_e32 v26, v14, v23
	v_ashrrev_i32_e32 v28, 31, v26
	v_mul_lo_u32 v29, s13, v26
	v_mad_u64_u32 v[26:27], s[56:57], s12, v26, 0
	v_mul_lo_u32 v28, s12, v28
	v_sub_u32_e32 v24, v25, v24
	v_mul_lo_u32 v24, v24, v19
	v_add3_u32 v27, v27, v28, v29
	v_lshlrev_b64 v[26:27], 1, v[26:27]
	v_add_co_u32_e32 v26, vcc, v8, v26
	v_addc_co_u32_e32 v27, vcc, v9, v27, vcc
	global_load_ushort v26, v[26:27], off
	v_min_i32_e32 v27, s49, v21
	v_add_u32_e32 v25, v27, v20
	v_mul_lo_u32 v25, v25, v18
	v_mov_b32_e32 v27, s26
	v_cndmask_b32_e64 v24, v24, v25, s[0:1]
	v_cndmask_b32_e64 v24, v24, v27, s[2:3]
	v_cvt_f32_i32_e32 v24, v24
	v_bfe_u32 v25, v24, 16, 1
	v_add3_u32 v24, v24, v25, s55
	v_and_b32_e32 v24, 0xffff0000, v24
	s_waitcnt vmcnt(0)
	v_lshlrev_b32_e32 v25, 16, v26
	v_div_scale_f32 v26, s[56:57], v24, v24, v25
	v_div_scale_f32 v27, vcc, v25, v24, v25
	v_rcp_f32_e32 v28, v26
	v_fma_f32 v29, -v26, v28, 1.0
	v_fmac_f32_e32 v28, v29, v28
	v_mul_f32_e32 v29, v27, v28
	v_fma_f32 v30, -v26, v29, v27
	v_fmac_f32_e32 v29, v30, v28
	v_fma_f32 v26, -v26, v29, v27
	v_div_fmas_f32 v26, v26, v28, v29
	v_div_fixup_f32 v24, v26, v24, v25
	v_bfe_u32 v25, v24, 16, 1
	v_add3_u32 v25, v24, v25, s55
	v_and_b32_e32 v25, 0xffff0000, v25
	v_cmp_o_f32_e32 vcc, v24, v24
	v_cndmask_b32_e32 v24, v12, v25, vcc
	v_add_f32_e32 v3, v3, v24
	s_branch .LBB22_26
.LBB22_29:
	s_endpgm
	.section	.rodata,"a",@progbits
	.p2align	6, 0x0
	.amdhsa_kernel _ZN2at6native12_GLOBAL__N_139avg_pool2d_backward_out_cuda_frame_nhwcIN3c108BFloat16EflEEvT1_PKT_llliiiiiiiiPS6_ibb
		.amdhsa_group_segment_fixed_size 0
		.amdhsa_private_segment_fixed_size 0
		.amdhsa_kernarg_size 344
		.amdhsa_user_sgpr_count 6
		.amdhsa_user_sgpr_private_segment_buffer 1
		.amdhsa_user_sgpr_dispatch_ptr 0
		.amdhsa_user_sgpr_queue_ptr 0
		.amdhsa_user_sgpr_kernarg_segment_ptr 1
		.amdhsa_user_sgpr_dispatch_id 0
		.amdhsa_user_sgpr_flat_scratch_init 0
		.amdhsa_user_sgpr_private_segment_size 0
		.amdhsa_uses_dynamic_stack 0
		.amdhsa_system_sgpr_private_segment_wavefront_offset 0
		.amdhsa_system_sgpr_workgroup_id_x 1
		.amdhsa_system_sgpr_workgroup_id_y 0
		.amdhsa_system_sgpr_workgroup_id_z 0
		.amdhsa_system_sgpr_workgroup_info 0
		.amdhsa_system_vgpr_workitem_id 0
		.amdhsa_next_free_vgpr 31
		.amdhsa_next_free_sgpr 58
		.amdhsa_reserve_vcc 1
		.amdhsa_reserve_flat_scratch 0
		.amdhsa_float_round_mode_32 0
		.amdhsa_float_round_mode_16_64 0
		.amdhsa_float_denorm_mode_32 3
		.amdhsa_float_denorm_mode_16_64 3
		.amdhsa_dx10_clamp 1
		.amdhsa_ieee_mode 1
		.amdhsa_fp16_overflow 0
		.amdhsa_exception_fp_ieee_invalid_op 0
		.amdhsa_exception_fp_denorm_src 0
		.amdhsa_exception_fp_ieee_div_zero 0
		.amdhsa_exception_fp_ieee_overflow 0
		.amdhsa_exception_fp_ieee_underflow 0
		.amdhsa_exception_fp_ieee_inexact 0
		.amdhsa_exception_int_div_zero 0
	.end_amdhsa_kernel
	.section	.text._ZN2at6native12_GLOBAL__N_139avg_pool2d_backward_out_cuda_frame_nhwcIN3c108BFloat16EflEEvT1_PKT_llliiiiiiiiPS6_ibb,"axG",@progbits,_ZN2at6native12_GLOBAL__N_139avg_pool2d_backward_out_cuda_frame_nhwcIN3c108BFloat16EflEEvT1_PKT_llliiiiiiiiPS6_ibb,comdat
.Lfunc_end22:
	.size	_ZN2at6native12_GLOBAL__N_139avg_pool2d_backward_out_cuda_frame_nhwcIN3c108BFloat16EflEEvT1_PKT_llliiiiiiiiPS6_ibb, .Lfunc_end22-_ZN2at6native12_GLOBAL__N_139avg_pool2d_backward_out_cuda_frame_nhwcIN3c108BFloat16EflEEvT1_PKT_llliiiiiiiiPS6_ibb
                                        ; -- End function
	.set _ZN2at6native12_GLOBAL__N_139avg_pool2d_backward_out_cuda_frame_nhwcIN3c108BFloat16EflEEvT1_PKT_llliiiiiiiiPS6_ibb.num_vgpr, 31
	.set _ZN2at6native12_GLOBAL__N_139avg_pool2d_backward_out_cuda_frame_nhwcIN3c108BFloat16EflEEvT1_PKT_llliiiiiiiiPS6_ibb.num_agpr, 0
	.set _ZN2at6native12_GLOBAL__N_139avg_pool2d_backward_out_cuda_frame_nhwcIN3c108BFloat16EflEEvT1_PKT_llliiiiiiiiPS6_ibb.numbered_sgpr, 58
	.set _ZN2at6native12_GLOBAL__N_139avg_pool2d_backward_out_cuda_frame_nhwcIN3c108BFloat16EflEEvT1_PKT_llliiiiiiiiPS6_ibb.num_named_barrier, 0
	.set _ZN2at6native12_GLOBAL__N_139avg_pool2d_backward_out_cuda_frame_nhwcIN3c108BFloat16EflEEvT1_PKT_llliiiiiiiiPS6_ibb.private_seg_size, 0
	.set _ZN2at6native12_GLOBAL__N_139avg_pool2d_backward_out_cuda_frame_nhwcIN3c108BFloat16EflEEvT1_PKT_llliiiiiiiiPS6_ibb.uses_vcc, 1
	.set _ZN2at6native12_GLOBAL__N_139avg_pool2d_backward_out_cuda_frame_nhwcIN3c108BFloat16EflEEvT1_PKT_llliiiiiiiiPS6_ibb.uses_flat_scratch, 0
	.set _ZN2at6native12_GLOBAL__N_139avg_pool2d_backward_out_cuda_frame_nhwcIN3c108BFloat16EflEEvT1_PKT_llliiiiiiiiPS6_ibb.has_dyn_sized_stack, 0
	.set _ZN2at6native12_GLOBAL__N_139avg_pool2d_backward_out_cuda_frame_nhwcIN3c108BFloat16EflEEvT1_PKT_llliiiiiiiiPS6_ibb.has_recursion, 0
	.set _ZN2at6native12_GLOBAL__N_139avg_pool2d_backward_out_cuda_frame_nhwcIN3c108BFloat16EflEEvT1_PKT_llliiiiiiiiPS6_ibb.has_indirect_call, 0
	.section	.AMDGPU.csdata,"",@progbits
; Kernel info:
; codeLenInByte = 3560
; TotalNumSgprs: 62
; NumVgprs: 31
; ScratchSize: 0
; MemoryBound: 0
; FloatMode: 240
; IeeeMode: 1
; LDSByteSize: 0 bytes/workgroup (compile time only)
; SGPRBlocks: 7
; VGPRBlocks: 7
; NumSGPRsForWavesPerEU: 62
; NumVGPRsForWavesPerEU: 31
; Occupancy: 8
; WaveLimiterHint : 0
; COMPUTE_PGM_RSRC2:SCRATCH_EN: 0
; COMPUTE_PGM_RSRC2:USER_SGPR: 6
; COMPUTE_PGM_RSRC2:TRAP_HANDLER: 0
; COMPUTE_PGM_RSRC2:TGID_X_EN: 1
; COMPUTE_PGM_RSRC2:TGID_Y_EN: 0
; COMPUTE_PGM_RSRC2:TGID_Z_EN: 0
; COMPUTE_PGM_RSRC2:TIDIG_COMP_CNT: 0
	.section	.text._ZN2at6native12_GLOBAL__N_134avg_pool2d_backward_out_cuda_frameIN3c108BFloat16EflEEvT1_PKT_llllliiiiiiPS6_ibb,"axG",@progbits,_ZN2at6native12_GLOBAL__N_134avg_pool2d_backward_out_cuda_frameIN3c108BFloat16EflEEvT1_PKT_llllliiiiiiPS6_ibb,comdat
	.globl	_ZN2at6native12_GLOBAL__N_134avg_pool2d_backward_out_cuda_frameIN3c108BFloat16EflEEvT1_PKT_llllliiiiiiPS6_ibb ; -- Begin function _ZN2at6native12_GLOBAL__N_134avg_pool2d_backward_out_cuda_frameIN3c108BFloat16EflEEvT1_PKT_llllliiiiiiPS6_ibb
	.p2align	8
	.type	_ZN2at6native12_GLOBAL__N_134avg_pool2d_backward_out_cuda_frameIN3c108BFloat16EflEEvT1_PKT_llllliiiiiiPS6_ibb,@function
_ZN2at6native12_GLOBAL__N_134avg_pool2d_backward_out_cuda_frameIN3c108BFloat16EflEEvT1_PKT_llllliiiiiiPS6_ibb: ; @_ZN2at6native12_GLOBAL__N_134avg_pool2d_backward_out_cuda_frameIN3c108BFloat16EflEEvT1_PKT_llllliiiiiiPS6_ibb
; %bb.0:
	s_load_dword s2, s[4:5], 0x6c
	s_load_dwordx8 s[8:15], s[4:5], 0x0
	s_add_u32 s0, s4, 0x60
	v_mov_b32_e32 v2, 0
	s_addc_u32 s1, s5, 0
	s_waitcnt lgkmcnt(0)
	s_and_b32 s7, s2, 0xffff
	v_mov_b32_e32 v1, v2
	v_mov_b32_e32 v3, s6
	v_mad_u64_u32 v[0:1], s[2:3], s7, v3, v[0:1]
	v_cmp_gt_i64_e32 vcc, s[8:9], v[0:1]
	s_and_saveexec_b64 s[2:3], vcc
	s_cbranch_execz .LBB23_29
; %bb.1:
	s_load_dwordx2 s[34:35], s[4:5], 0x58
	s_load_dword s2, s[4:5], 0x5c
	s_load_dwordx8 s[16:23], s[4:5], 0x38
	s_load_dword s6, s[0:1], 0x0
	s_load_dwordx8 s[24:31], s[4:5], 0x20
	s_waitcnt lgkmcnt(0)
	s_bitcmp1_b32 s35, 0
	s_cselect_b64 s[0:1], -1, 0
	s_bitcmp1_b32 s2, 8
	s_cselect_b64 s[2:3], -1, 0
	s_abs_i32 s33, s18
	v_cvt_f32_u32_e32 v3, s33
	s_abs_i32 s35, s19
	v_cvt_f32_u32_e32 v4, s35
	s_sub_i32 s4, 0, s33
	v_rcp_iflag_f32_e32 v3, v3
	s_mul_i32 s52, s6, s7
	v_rcp_iflag_f32_e32 v4, v4
	s_add_i32 s53, s20, s14
	v_mul_f32_e32 v3, 0x4f7ffffe, v3
	v_cvt_u32_f32_e32 v3, v3
	v_mul_f32_e32 v4, 0x4f7ffffe, v4
	v_cvt_u32_f32_e32 v4, v4
	s_add_i32 s54, s21, s24
	v_mul_lo_u32 v5, s4, v3
	s_sub_i32 s4, 0, s35
	v_mul_lo_u32 v6, s4, v4
	s_ashr_i32 s55, s18, 31
	v_mul_hi_u32 v5, v3, v5
	s_ashr_i32 s56, s19, 31
	v_mul_hi_u32 v6, v4, v6
	s_lshl_b64 s[30:31], s[26:27], 1
	v_add_u32_e32 v10, v3, v5
	s_lshl_b64 s[36:37], s[28:29], 1
	v_add_u32_e32 v11, v4, v6
	s_sub_i32 s27, 0, s21
	s_sub_i32 s57, s17, s21
	s_mov_b64 s[38:39], 0
	s_movk_i32 s58, 0x7fff
	s_ashr_i32 s40, s25, 31
	v_mov_b32_e32 v12, 0x7fc00000
	v_mov_b32_e32 v13, 0x7fc0
	s_branch .LBB23_4
.LBB23_2:                               ;   in Loop: Header=BB23_4 Depth=1
	s_or_b64 exec, exec, s[44:45]
.LBB23_3:                               ;   in Loop: Header=BB23_4 Depth=1
	s_or_b64 exec, exec, s[42:43]
	v_bfe_u32 v3, v4, 16, 1
	v_add3_u32 v3, v4, v3, s58
	v_cmp_o_f32_e32 vcc, v4, v4
	v_cndmask_b32_sdwa v5, v13, v3, vcc dst_sel:DWORD dst_unused:UNUSED_PAD src0_sel:DWORD src1_sel:WORD_1
	v_lshlrev_b64 v[3:4], 1, v[0:1]
	v_add_co_u32_e32 v0, vcc, s52, v0
	v_addc_co_u32_e32 v1, vcc, 0, v1, vcc
	v_cmp_le_i64_e32 vcc, s[8:9], v[0:1]
	v_mov_b32_e32 v6, s23
	v_add_co_u32_e64 v3, s[4:5], s22, v3
	v_addc_co_u32_e64 v4, s[4:5], v6, v4, s[4:5]
	s_or_b64 s[38:39], vcc, s[38:39]
	global_store_short v[3:4], v5, off
	s_andn2_b64 exec, exec, s[38:39]
	s_cbranch_execz .LBB23_29
.LBB23_4:                               ; =>This Loop Header: Depth=1
                                        ;     Child Loop BB23_24 Depth 2
                                        ;       Child Loop BB23_27 Depth 3
	v_or_b32_e32 v3, s25, v1
	v_cmp_ne_u64_e32 vcc, 0, v[2:3]
                                        ; implicit-def: $vgpr4_vgpr5
	s_and_saveexec_b64 s[4:5], vcc
	s_xor_b64 s[6:7], exec, s[4:5]
	s_cbranch_execz .LBB23_6
; %bb.5:                                ;   in Loop: Header=BB23_4 Depth=1
	s_add_u32 s4, s24, s40
	s_mov_b32 s41, s40
	s_addc_u32 s5, s25, s40
	s_xor_b64 s[42:43], s[4:5], s[40:41]
	v_cvt_f32_u32_e32 v3, s42
	v_cvt_f32_u32_e32 v4, s43
	s_sub_u32 s41, 0, s42
	s_subb_u32 s44, 0, s43
	v_ashrrev_i32_e32 v7, 31, v1
	v_mac_f32_e32 v3, 0x4f800000, v4
	v_rcp_f32_e32 v3, v3
	v_mul_f32_e32 v3, 0x5f7ffffc, v3
	v_mul_f32_e32 v4, 0x2f800000, v3
	v_trunc_f32_e32 v4, v4
	v_mac_f32_e32 v3, 0xcf800000, v4
	v_cvt_u32_f32_e32 v4, v4
	v_cvt_u32_f32_e32 v3, v3
	v_readfirstlane_b32 s45, v4
	v_readfirstlane_b32 s4, v3
	s_mul_i32 s5, s41, s45
	s_mul_hi_u32 s47, s41, s4
	s_mul_i32 s46, s44, s4
	s_add_i32 s5, s47, s5
	s_add_i32 s5, s5, s46
	s_mul_i32 s48, s41, s4
	s_mul_i32 s47, s4, s5
	s_mul_hi_u32 s49, s4, s48
	s_mul_hi_u32 s46, s4, s5
	s_add_u32 s47, s49, s47
	s_addc_u32 s46, 0, s46
	s_mul_hi_u32 s50, s45, s48
	s_mul_i32 s48, s45, s48
	s_add_u32 s47, s47, s48
	s_mul_hi_u32 s49, s45, s5
	s_addc_u32 s46, s46, s50
	s_addc_u32 s47, s49, 0
	s_mul_i32 s5, s45, s5
	s_add_u32 s5, s46, s5
	s_addc_u32 s46, 0, s47
	s_add_u32 s47, s4, s5
	s_cselect_b64 s[4:5], -1, 0
	s_cmp_lg_u64 s[4:5], 0
	s_addc_u32 s45, s45, s46
	s_mul_i32 s4, s41, s45
	s_mul_hi_u32 s5, s41, s47
	s_add_i32 s4, s5, s4
	s_mul_i32 s44, s44, s47
	s_add_i32 s4, s4, s44
	s_mul_i32 s41, s41, s47
	s_mul_hi_u32 s44, s45, s41
	s_mul_i32 s46, s45, s41
	s_mul_i32 s49, s47, s4
	s_mul_hi_u32 s41, s47, s41
	s_mul_hi_u32 s48, s47, s4
	s_add_u32 s41, s41, s49
	s_addc_u32 s48, 0, s48
	s_add_u32 s41, s41, s46
	s_mul_hi_u32 s5, s45, s4
	s_addc_u32 s41, s48, s44
	s_addc_u32 s5, s5, 0
	s_mul_i32 s4, s45, s4
	s_add_u32 s4, s41, s4
	s_addc_u32 s41, 0, s5
	s_add_u32 s44, s47, s4
	s_cselect_b64 s[4:5], -1, 0
	s_cmp_lg_u64 s[4:5], 0
	v_add_co_u32_e32 v3, vcc, v0, v7
	s_addc_u32 s41, s45, s41
	v_xor_b32_e32 v8, v3, v7
	v_mad_u64_u32 v[3:4], s[4:5], v8, s41, 0
	v_mul_hi_u32 v6, v8, s44
	v_addc_co_u32_e32 v5, vcc, v1, v7, vcc
	v_xor_b32_e32 v9, v5, v7
	v_add_co_u32_e32 v14, vcc, v6, v3
	v_addc_co_u32_e32 v15, vcc, 0, v4, vcc
	v_mad_u64_u32 v[3:4], s[4:5], v9, s44, 0
	v_mad_u64_u32 v[5:6], s[4:5], v9, s41, 0
	v_add_co_u32_e32 v3, vcc, v14, v3
	v_addc_co_u32_e32 v3, vcc, v15, v4, vcc
	v_addc_co_u32_e32 v4, vcc, 0, v6, vcc
	v_add_co_u32_e32 v5, vcc, v3, v5
	v_addc_co_u32_e32 v6, vcc, 0, v4, vcc
	v_mul_lo_u32 v14, s43, v5
	v_mul_lo_u32 v15, s42, v6
	v_mad_u64_u32 v[3:4], s[4:5], s42, v5, 0
	v_add3_u32 v4, v4, v15, v14
	v_sub_u32_e32 v14, v9, v4
	v_mov_b32_e32 v15, s43
	v_sub_co_u32_e32 v3, vcc, v8, v3
	v_subb_co_u32_e64 v8, s[4:5], v14, v15, vcc
	v_subrev_co_u32_e64 v14, s[4:5], s42, v3
	v_subbrev_co_u32_e64 v8, s[4:5], 0, v8, s[4:5]
	v_cmp_le_u32_e64 s[4:5], s43, v8
	v_cndmask_b32_e64 v15, 0, -1, s[4:5]
	v_cmp_le_u32_e64 s[4:5], s42, v14
	v_cndmask_b32_e64 v14, 0, -1, s[4:5]
	v_cmp_eq_u32_e64 s[4:5], s43, v8
	v_cndmask_b32_e64 v8, v15, v14, s[4:5]
	v_add_co_u32_e64 v14, s[4:5], 2, v5
	v_subb_co_u32_e32 v4, vcc, v9, v4, vcc
	v_addc_co_u32_e64 v15, s[4:5], 0, v6, s[4:5]
	v_cmp_le_u32_e32 vcc, s43, v4
	v_add_co_u32_e64 v16, s[4:5], 1, v5
	v_cndmask_b32_e64 v9, 0, -1, vcc
	v_cmp_le_u32_e32 vcc, s42, v3
	v_addc_co_u32_e64 v17, s[4:5], 0, v6, s[4:5]
	v_cndmask_b32_e64 v3, 0, -1, vcc
	v_cmp_eq_u32_e32 vcc, s43, v4
	v_cmp_ne_u32_e64 s[4:5], 0, v8
	v_cndmask_b32_e32 v3, v9, v3, vcc
	v_cmp_ne_u32_e32 vcc, 0, v3
	v_cndmask_b32_e64 v4, v16, v14, s[4:5]
	v_cndmask_b32_e64 v8, v17, v15, s[4:5]
	v_cndmask_b32_e32 v4, v5, v4, vcc
	v_xor_b32_e32 v5, s40, v7
	v_cndmask_b32_e32 v3, v6, v8, vcc
	v_xor_b32_e32 v4, v4, v5
	v_xor_b32_e32 v3, v3, v5
	v_sub_co_u32_e32 v4, vcc, v4, v5
	v_subb_co_u32_e32 v5, vcc, v3, v5, vcc
.LBB23_6:                               ;   in Loop: Header=BB23_4 Depth=1
	s_andn2_saveexec_b64 s[4:5], s[6:7]
	s_cbranch_execz .LBB23_8
; %bb.7:                                ;   in Loop: Header=BB23_4 Depth=1
	v_cvt_f32_u32_e32 v3, s24
	s_sub_i32 s6, 0, s24
	v_rcp_iflag_f32_e32 v3, v3
	v_mul_f32_e32 v3, 0x4f7ffffe, v3
	v_cvt_u32_f32_e32 v3, v3
	v_mul_lo_u32 v4, s6, v3
	v_mul_hi_u32 v4, v3, v4
	v_add_u32_e32 v3, v3, v4
	v_mul_hi_u32 v3, v0, v3
	v_mul_lo_u32 v4, v3, s24
	v_add_u32_e32 v5, 1, v3
	v_sub_u32_e32 v4, v0, v4
	v_subrev_u32_e32 v6, s24, v4
	v_cmp_le_u32_e32 vcc, s24, v4
	v_cndmask_b32_e32 v4, v4, v6, vcc
	v_cndmask_b32_e32 v3, v3, v5, vcc
	v_add_u32_e32 v5, 1, v3
	v_cmp_le_u32_e32 vcc, s24, v4
	v_cndmask_b32_e32 v4, v3, v5, vcc
	v_mov_b32_e32 v5, v2
.LBB23_8:                               ;   in Loop: Header=BB23_4 Depth=1
	s_or_b64 exec, exec, s[4:5]
	v_or_b32_e32 v3, s15, v5
	v_cmp_ne_u64_e32 vcc, 0, v[2:3]
                                        ; implicit-def: $vgpr6_vgpr7
	s_and_saveexec_b64 s[4:5], vcc
	s_xor_b64 s[6:7], exec, s[4:5]
	s_cbranch_execz .LBB23_10
; %bb.9:                                ;   in Loop: Header=BB23_4 Depth=1
	s_ashr_i32 s42, s15, 31
	s_add_u32 s4, s14, s42
	s_mov_b32 s43, s42
	s_addc_u32 s5, s15, s42
	s_xor_b64 s[44:45], s[4:5], s[42:43]
	v_cvt_f32_u32_e32 v3, s44
	v_cvt_f32_u32_e32 v6, s45
	s_sub_u32 s41, 0, s44
	s_subb_u32 s43, 0, s45
	v_mac_f32_e32 v3, 0x4f800000, v6
	v_rcp_f32_e32 v3, v3
	v_mul_f32_e32 v3, 0x5f7ffffc, v3
	v_mul_f32_e32 v6, 0x2f800000, v3
	v_trunc_f32_e32 v6, v6
	v_mac_f32_e32 v3, 0xcf800000, v6
	v_cvt_u32_f32_e32 v6, v6
	v_cvt_u32_f32_e32 v3, v3
	v_readfirstlane_b32 s46, v6
	v_readfirstlane_b32 s4, v3
	s_mul_i32 s5, s41, s46
	s_mul_hi_u32 s48, s41, s4
	s_mul_i32 s47, s43, s4
	s_add_i32 s5, s48, s5
	s_add_i32 s5, s5, s47
	s_mul_i32 s49, s41, s4
	s_mul_i32 s48, s4, s5
	s_mul_hi_u32 s50, s4, s49
	s_mul_hi_u32 s47, s4, s5
	s_add_u32 s48, s50, s48
	s_addc_u32 s47, 0, s47
	s_mul_hi_u32 s51, s46, s49
	s_mul_i32 s49, s46, s49
	s_add_u32 s48, s48, s49
	s_mul_hi_u32 s50, s46, s5
	s_addc_u32 s47, s47, s51
	s_addc_u32 s48, s50, 0
	s_mul_i32 s5, s46, s5
	s_add_u32 s5, s47, s5
	s_addc_u32 s47, 0, s48
	s_add_u32 s48, s4, s5
	s_cselect_b64 s[4:5], -1, 0
	s_cmp_lg_u64 s[4:5], 0
	s_addc_u32 s46, s46, s47
	s_mul_i32 s4, s41, s46
	s_mul_hi_u32 s5, s41, s48
	s_add_i32 s4, s5, s4
	s_mul_i32 s43, s43, s48
	s_add_i32 s4, s4, s43
	s_mul_i32 s41, s41, s48
	s_mul_hi_u32 s43, s46, s41
	s_mul_i32 s47, s46, s41
	s_mul_i32 s50, s48, s4
	s_mul_hi_u32 s41, s48, s41
	s_mul_hi_u32 s49, s48, s4
	s_add_u32 s41, s41, s50
	s_addc_u32 s49, 0, s49
	s_add_u32 s41, s41, s47
	s_mul_hi_u32 s5, s46, s4
	s_addc_u32 s41, s49, s43
	s_addc_u32 s5, s5, 0
	s_mul_i32 s4, s46, s4
	s_add_u32 s4, s41, s4
	s_addc_u32 s41, 0, s5
	s_add_u32 s43, s48, s4
	s_cselect_b64 s[4:5], -1, 0
	v_ashrrev_i32_e32 v3, 31, v5
	s_cmp_lg_u64 s[4:5], 0
	v_add_co_u32_e32 v6, vcc, v4, v3
	s_addc_u32 s41, s46, s41
	v_xor_b32_e32 v9, v6, v3
	v_addc_co_u32_e32 v7, vcc, v5, v3, vcc
	v_mad_u64_u32 v[5:6], s[4:5], v9, s41, 0
	v_mul_hi_u32 v8, v9, s43
	v_xor_b32_e32 v14, v7, v3
	v_xor_b32_e32 v3, s42, v3
	v_add_co_u32_e32 v15, vcc, v8, v5
	v_addc_co_u32_e32 v16, vcc, 0, v6, vcc
	v_mad_u64_u32 v[5:6], s[4:5], v14, s43, 0
	v_mad_u64_u32 v[7:8], s[4:5], v14, s41, 0
	v_add_co_u32_e32 v5, vcc, v15, v5
	v_addc_co_u32_e32 v5, vcc, v16, v6, vcc
	v_addc_co_u32_e32 v6, vcc, 0, v8, vcc
	v_add_co_u32_e32 v7, vcc, v5, v7
	v_addc_co_u32_e32 v8, vcc, 0, v6, vcc
	v_mul_lo_u32 v15, s45, v7
	v_mul_lo_u32 v16, s44, v8
	v_mad_u64_u32 v[5:6], s[4:5], s44, v7, 0
	v_add3_u32 v6, v6, v16, v15
	v_sub_u32_e32 v15, v14, v6
	v_mov_b32_e32 v16, s45
	v_sub_co_u32_e32 v5, vcc, v9, v5
	v_subb_co_u32_e64 v9, s[4:5], v15, v16, vcc
	v_subrev_co_u32_e64 v15, s[4:5], s44, v5
	v_subbrev_co_u32_e64 v9, s[4:5], 0, v9, s[4:5]
	v_cmp_le_u32_e64 s[4:5], s45, v9
	v_cndmask_b32_e64 v16, 0, -1, s[4:5]
	v_cmp_le_u32_e64 s[4:5], s44, v15
	v_cndmask_b32_e64 v15, 0, -1, s[4:5]
	v_cmp_eq_u32_e64 s[4:5], s45, v9
	v_cndmask_b32_e64 v9, v16, v15, s[4:5]
	v_add_co_u32_e64 v15, s[4:5], 2, v7
	v_subb_co_u32_e32 v6, vcc, v14, v6, vcc
	v_addc_co_u32_e64 v16, s[4:5], 0, v8, s[4:5]
	v_cmp_le_u32_e32 vcc, s45, v6
	v_add_co_u32_e64 v17, s[4:5], 1, v7
	v_cndmask_b32_e64 v14, 0, -1, vcc
	v_cmp_le_u32_e32 vcc, s44, v5
	v_addc_co_u32_e64 v18, s[4:5], 0, v8, s[4:5]
	v_cndmask_b32_e64 v5, 0, -1, vcc
	v_cmp_eq_u32_e32 vcc, s45, v6
	v_cmp_ne_u32_e64 s[4:5], 0, v9
	v_cndmask_b32_e32 v5, v14, v5, vcc
	v_cmp_ne_u32_e32 vcc, 0, v5
	v_cndmask_b32_e64 v6, v17, v15, s[4:5]
	v_cndmask_b32_e64 v9, v18, v16, s[4:5]
	v_cndmask_b32_e32 v6, v7, v6, vcc
	v_cndmask_b32_e32 v5, v8, v9, vcc
	v_xor_b32_e32 v6, v6, v3
	v_xor_b32_e32 v5, v5, v3
	v_sub_co_u32_e32 v6, vcc, v6, v3
	v_subb_co_u32_e32 v7, vcc, v5, v3, vcc
.LBB23_10:                              ;   in Loop: Header=BB23_4 Depth=1
	s_andn2_saveexec_b64 s[4:5], s[6:7]
	s_cbranch_execz .LBB23_12
; %bb.11:                               ;   in Loop: Header=BB23_4 Depth=1
	v_cvt_f32_u32_e32 v3, s14
	s_sub_i32 s6, 0, s14
	v_rcp_iflag_f32_e32 v3, v3
	v_mul_f32_e32 v3, 0x4f7ffffe, v3
	v_cvt_u32_f32_e32 v3, v3
	v_mul_lo_u32 v5, s6, v3
	v_mul_hi_u32 v5, v3, v5
	v_add_u32_e32 v3, v3, v5
	v_mul_hi_u32 v3, v4, v3
	v_mul_lo_u32 v5, v3, s14
	v_add_u32_e32 v6, 1, v3
	v_sub_u32_e32 v5, v4, v5
	v_subrev_u32_e32 v7, s14, v5
	v_cmp_le_u32_e32 vcc, s14, v5
	v_cndmask_b32_e32 v5, v5, v7, vcc
	v_cndmask_b32_e32 v3, v3, v6, vcc
	v_add_u32_e32 v6, 1, v3
	v_cmp_le_u32_e32 vcc, s14, v5
	v_cndmask_b32_e32 v6, v3, v6, vcc
	v_mov_b32_e32 v7, v2
.LBB23_12:                              ;   in Loop: Header=BB23_4 Depth=1
	s_or_b64 exec, exec, s[4:5]
	v_or_b32_e32 v3, s13, v7
	v_cmp_ne_u64_e32 vcc, 0, v[2:3]
                                        ; implicit-def: $vgpr8_vgpr9
	s_and_saveexec_b64 s[4:5], vcc
	s_xor_b64 s[6:7], exec, s[4:5]
	s_cbranch_execz .LBB23_14
; %bb.13:                               ;   in Loop: Header=BB23_4 Depth=1
	s_ashr_i32 s42, s13, 31
	s_add_u32 s4, s12, s42
	s_mov_b32 s43, s42
	s_addc_u32 s5, s13, s42
	s_xor_b64 s[44:45], s[4:5], s[42:43]
	v_cvt_f32_u32_e32 v3, s44
	v_cvt_f32_u32_e32 v5, s45
	s_sub_u32 s41, 0, s44
	s_subb_u32 s43, 0, s45
	v_mac_f32_e32 v3, 0x4f800000, v5
	v_rcp_f32_e32 v3, v3
	v_mul_f32_e32 v3, 0x5f7ffffc, v3
	v_mul_f32_e32 v5, 0x2f800000, v3
	v_trunc_f32_e32 v5, v5
	v_mac_f32_e32 v3, 0xcf800000, v5
	v_cvt_u32_f32_e32 v5, v5
	v_cvt_u32_f32_e32 v3, v3
	v_readfirstlane_b32 s46, v5
	v_readfirstlane_b32 s4, v3
	s_mul_i32 s5, s41, s46
	s_mul_hi_u32 s48, s41, s4
	s_mul_i32 s47, s43, s4
	s_add_i32 s5, s48, s5
	s_add_i32 s5, s5, s47
	s_mul_i32 s49, s41, s4
	s_mul_i32 s48, s4, s5
	s_mul_hi_u32 s50, s4, s49
	s_mul_hi_u32 s47, s4, s5
	s_add_u32 s48, s50, s48
	s_addc_u32 s47, 0, s47
	s_mul_hi_u32 s51, s46, s49
	s_mul_i32 s49, s46, s49
	s_add_u32 s48, s48, s49
	s_mul_hi_u32 s50, s46, s5
	s_addc_u32 s47, s47, s51
	s_addc_u32 s48, s50, 0
	s_mul_i32 s5, s46, s5
	s_add_u32 s5, s47, s5
	s_addc_u32 s47, 0, s48
	s_add_u32 s48, s4, s5
	s_cselect_b64 s[4:5], -1, 0
	s_cmp_lg_u64 s[4:5], 0
	s_addc_u32 s46, s46, s47
	s_mul_i32 s4, s41, s46
	s_mul_hi_u32 s5, s41, s48
	s_add_i32 s4, s5, s4
	s_mul_i32 s43, s43, s48
	s_add_i32 s4, s4, s43
	s_mul_i32 s41, s41, s48
	s_mul_hi_u32 s43, s46, s41
	s_mul_i32 s47, s46, s41
	s_mul_i32 s50, s48, s4
	s_mul_hi_u32 s41, s48, s41
	s_mul_hi_u32 s49, s48, s4
	s_add_u32 s41, s41, s50
	s_addc_u32 s49, 0, s49
	s_add_u32 s41, s41, s47
	s_mul_hi_u32 s5, s46, s4
	s_addc_u32 s41, s49, s43
	s_addc_u32 s5, s5, 0
	s_mul_i32 s4, s46, s4
	s_add_u32 s4, s41, s4
	s_addc_u32 s41, 0, s5
	s_add_u32 s43, s48, s4
	s_cselect_b64 s[4:5], -1, 0
	v_ashrrev_i32_e32 v3, 31, v7
	s_cmp_lg_u64 s[4:5], 0
	v_add_co_u32_e32 v5, vcc, v6, v3
	s_addc_u32 s41, s46, s41
	v_xor_b32_e32 v5, v5, v3
	v_addc_co_u32_e32 v9, vcc, v7, v3, vcc
	v_mad_u64_u32 v[7:8], s[4:5], v5, s41, 0
	v_mul_hi_u32 v14, v5, s43
	v_xor_b32_e32 v9, v9, v3
	v_xor_b32_e32 v3, s42, v3
	v_add_co_u32_e32 v16, vcc, v14, v7
	v_addc_co_u32_e32 v17, vcc, 0, v8, vcc
	v_mad_u64_u32 v[7:8], s[4:5], v9, s43, 0
	v_mad_u64_u32 v[14:15], s[4:5], v9, s41, 0
	v_add_co_u32_e32 v7, vcc, v16, v7
	v_addc_co_u32_e32 v7, vcc, v17, v8, vcc
	v_addc_co_u32_e32 v8, vcc, 0, v15, vcc
	v_add_co_u32_e32 v14, vcc, v7, v14
	v_addc_co_u32_e32 v7, vcc, 0, v8, vcc
	v_mul_lo_u32 v15, s45, v14
	v_mul_lo_u32 v16, s44, v7
	v_mad_u64_u32 v[7:8], s[4:5], s44, v14, 0
	v_add3_u32 v8, v8, v16, v15
	v_sub_u32_e32 v15, v9, v8
	v_mov_b32_e32 v16, s45
	v_sub_co_u32_e32 v5, vcc, v5, v7
	v_subb_co_u32_e64 v7, s[4:5], v15, v16, vcc
	v_subrev_co_u32_e64 v15, s[4:5], s44, v5
	v_subbrev_co_u32_e64 v7, s[4:5], 0, v7, s[4:5]
	v_cmp_le_u32_e64 s[4:5], s45, v7
	v_subb_co_u32_e32 v8, vcc, v9, v8, vcc
	v_cndmask_b32_e64 v16, 0, -1, s[4:5]
	v_cmp_le_u32_e64 s[4:5], s44, v15
	v_cmp_le_u32_e32 vcc, s45, v8
	v_cndmask_b32_e64 v15, 0, -1, s[4:5]
	v_cmp_eq_u32_e64 s[4:5], s45, v7
	v_cndmask_b32_e64 v9, 0, -1, vcc
	v_cmp_le_u32_e32 vcc, s44, v5
	v_cndmask_b32_e64 v7, v16, v15, s[4:5]
	v_cndmask_b32_e64 v5, 0, -1, vcc
	v_cmp_eq_u32_e32 vcc, s45, v8
	v_add_co_u32_e64 v15, s[4:5], 2, v14
	v_add_co_u32_e64 v16, s[4:5], 1, v14
	v_cndmask_b32_e32 v5, v9, v5, vcc
	v_cmp_ne_u32_e32 vcc, 0, v7
	v_cndmask_b32_e32 v7, v16, v15, vcc
	v_cmp_ne_u32_e32 vcc, 0, v5
	v_cndmask_b32_e32 v5, v14, v7, vcc
	v_xor_b32_e32 v5, v5, v3
	v_sub_co_u32_e32 v8, vcc, v5, v3
.LBB23_14:                              ;   in Loop: Header=BB23_4 Depth=1
	s_andn2_saveexec_b64 s[4:5], s[6:7]
	s_cbranch_execz .LBB23_16
; %bb.15:                               ;   in Loop: Header=BB23_4 Depth=1
	v_cvt_f32_u32_e32 v3, s12
	s_sub_i32 s6, 0, s12
	v_rcp_iflag_f32_e32 v3, v3
	v_mul_f32_e32 v3, 0x4f7ffffe, v3
	v_cvt_u32_f32_e32 v3, v3
	v_mul_lo_u32 v5, s6, v3
	v_mul_hi_u32 v5, v3, v5
	v_add_u32_e32 v3, v3, v5
	v_mul_hi_u32 v3, v6, v3
	v_mul_lo_u32 v5, v3, s12
	v_add_u32_e32 v7, 1, v3
	v_sub_u32_e32 v5, v6, v5
	v_subrev_u32_e32 v8, s12, v5
	v_cmp_le_u32_e32 vcc, s12, v5
	v_cndmask_b32_e32 v5, v5, v8, vcc
	v_cndmask_b32_e32 v3, v3, v7, vcc
	v_add_u32_e32 v7, 1, v3
	v_cmp_le_u32_e32 vcc, s12, v5
	v_cndmask_b32_e32 v8, v3, v7, vcc
.LBB23_16:                              ;   in Loop: Header=BB23_4 Depth=1
	s_or_b64 exec, exec, s[4:5]
	v_mul_lo_u32 v5, v6, s14
	v_mov_b32_e32 v3, 0
	v_sub_u32_e32 v5, v4, v5
	v_add_u32_e32 v9, s20, v5
	v_cmp_le_i32_e32 vcc, s16, v9
	v_mov_b32_e32 v5, 0
	s_and_saveexec_b64 s[4:5], vcc
	s_cbranch_execz .LBB23_18
; %bb.17:                               ;   in Loop: Header=BB23_4 Depth=1
	v_subrev_u32_e32 v5, s16, v9
	v_mul_hi_u32 v7, v5, v10
	v_mul_lo_u32 v14, v7, s33
	v_add_u32_e32 v15, 1, v7
	v_sub_u32_e32 v5, v5, v14
	v_cmp_le_u32_e32 vcc, s33, v5
	v_subrev_u32_e32 v14, s33, v5
	v_cndmask_b32_e32 v7, v7, v15, vcc
	v_cndmask_b32_e32 v5, v5, v14, vcc
	v_add_u32_e32 v14, 1, v7
	v_cmp_le_u32_e32 vcc, s33, v5
	v_cndmask_b32_e32 v5, v7, v14, vcc
	v_xor_b32_e32 v5, s55, v5
	v_subrev_u32_e32 v5, s55, v5
	v_add_u32_e32 v5, 1, v5
.LBB23_18:                              ;   in Loop: Header=BB23_4 Depth=1
	s_or_b64 exec, exec, s[4:5]
	v_mul_lo_u32 v4, v4, s24
	v_sub_u32_e32 v4, v0, v4
	v_add_u32_e32 v7, s21, v4
	v_cmp_le_i32_e32 vcc, s17, v7
	s_and_saveexec_b64 s[4:5], vcc
	s_cbranch_execz .LBB23_20
; %bb.19:                               ;   in Loop: Header=BB23_4 Depth=1
	v_subrev_u32_e32 v3, s17, v7
	v_mul_hi_u32 v4, v3, v11
	v_mul_lo_u32 v14, v4, s35
	v_add_u32_e32 v15, 1, v4
	v_sub_u32_e32 v3, v3, v14
	v_cmp_le_u32_e32 vcc, s35, v3
	v_subrev_u32_e32 v14, s35, v3
	v_cndmask_b32_e32 v4, v4, v15, vcc
	v_cndmask_b32_e32 v3, v3, v14, vcc
	v_add_u32_e32 v14, 1, v4
	v_cmp_le_u32_e32 vcc, s35, v3
	v_cndmask_b32_e32 v3, v4, v14, vcc
	v_xor_b32_e32 v3, s56, v3
	v_subrev_u32_e32 v3, s56, v3
	v_add_u32_e32 v3, 1, v3
.LBB23_20:                              ;   in Loop: Header=BB23_4 Depth=1
	s_or_b64 exec, exec, s[4:5]
	v_sub_u32_e32 v4, 0, v9
	v_max_i32_e32 v4, v9, v4
	v_mul_hi_u32 v14, v4, v10
	v_ashrrev_i32_e32 v9, 31, v9
	v_xor_b32_e32 v9, s55, v9
	v_mul_lo_u32 v15, v14, s33
	v_add_u32_e32 v16, 1, v14
	v_sub_u32_e32 v4, v4, v15
	v_cmp_le_u32_e32 vcc, s33, v4
	v_subrev_u32_e32 v15, s33, v4
	v_cndmask_b32_e32 v14, v14, v16, vcc
	v_cndmask_b32_e32 v4, v4, v15, vcc
	v_add_u32_e32 v15, 1, v14
	v_cmp_le_u32_e32 vcc, s33, v4
	v_cndmask_b32_e32 v4, v14, v15, vcc
	v_xor_b32_e32 v4, v4, v9
	v_sub_u32_e32 v4, v4, v9
	v_add_u32_e32 v4, 1, v4
	v_min_i32_e32 v14, s26, v4
	v_cmp_lt_i32_e32 vcc, v5, v14
	v_mov_b32_e32 v4, 0
	s_and_saveexec_b64 s[42:43], vcc
	s_cbranch_execz .LBB23_3
; %bb.21:                               ;   in Loop: Header=BB23_4 Depth=1
	v_sub_u32_e32 v4, 0, v7
	v_max_i32_e32 v4, v7, v4
	v_mul_hi_u32 v9, v4, v11
	v_mul_lo_u32 v15, v8, s12
	v_ashrrev_i32_e32 v7, 31, v7
	v_xor_b32_e32 v17, s56, v7
	v_mul_lo_u32 v16, v9, s35
	v_sub_u32_e32 v6, v6, v15
	v_add_u32_e32 v7, 1, v9
	v_ashrrev_i32_e32 v18, 31, v8
	v_sub_u32_e32 v4, v4, v16
	v_cmp_le_u32_e32 vcc, s35, v4
	v_cndmask_b32_e32 v9, v9, v7, vcc
	v_ashrrev_i32_e32 v7, 31, v6
	v_mad_u64_u32 v[15:16], s[4:5], v8, s12, v[6:7]
	v_mul_lo_u32 v6, v8, s13
	v_mul_lo_u32 v7, v18, s12
	v_subrev_u32_e32 v8, s35, v4
	v_cndmask_b32_e32 v4, v4, v8, vcc
	v_add_u32_e32 v8, 1, v9
	v_add3_u32 v16, v7, v16, v6
	v_ashrrev_i32_e32 v6, 31, v5
	v_lshlrev_b64 v[6:7], 1, v[5:6]
	v_mul_lo_u32 v18, s31, v15
	v_mul_lo_u32 v16, s30, v16
	v_mad_u64_u32 v[6:7], s[4:5], s30, v15, v[6:7]
	v_cmp_le_u32_e32 vcc, s35, v4
	v_cndmask_b32_e32 v4, v9, v8, vcc
	v_xor_b32_e32 v4, v4, v17
	v_sub_u32_e32 v9, v4, v17
	v_ashrrev_i32_e32 v4, 31, v3
	v_add3_u32 v15, v18, v7, v16
	v_lshlrev_b64 v[7:8], 1, v[3:4]
	v_mul_lo_u32 v4, s28, v15
	v_mul_lo_u32 v16, s29, v6
	v_mad_u64_u32 v[6:7], s[4:5], s28, v6, v[7:8]
	v_add_u32_e32 v8, 1, v9
	v_min_i32_e32 v15, s28, v8
	v_mul_lo_u32 v8, s19, v3
	v_add3_u32 v4, v16, v7, v4
	v_mov_b32_e32 v7, s11
	v_add_co_u32_e32 v6, vcc, s10, v6
	v_cmp_lt_i32_e64 s[4:5], v3, v15
	v_addc_co_u32_e32 v7, vcc, v7, v4, vcc
	v_add_u32_e32 v16, s27, v8
	v_add_u32_e32 v17, s57, v8
	v_sub_u32_e32 v18, s21, v8
	v_mov_b32_e32 v4, 0
	s_mov_b64 s[44:45], 0
	s_branch .LBB23_24
.LBB23_22:                              ;   in Loop: Header=BB23_24 Depth=2
	s_or_b64 exec, exec, s[48:49]
.LBB23_23:                              ;   in Loop: Header=BB23_24 Depth=2
	s_or_b64 exec, exec, s[46:47]
	v_add_u32_e32 v5, 1, v5
	v_cmp_ge_i32_e32 vcc, v5, v14
	v_mov_b32_e32 v8, s37
	s_or_b64 s[44:45], vcc, s[44:45]
	v_add_co_u32_e32 v6, vcc, s36, v6
	v_addc_co_u32_e32 v7, vcc, v7, v8, vcc
	s_andn2_b64 exec, exec, s[44:45]
	s_cbranch_execz .LBB23_2
.LBB23_24:                              ;   Parent Loop BB23_4 Depth=1
                                        ; =>  This Loop Header: Depth=2
                                        ;       Child Loop BB23_27 Depth 3
	s_and_saveexec_b64 s[46:47], s[4:5]
	s_cbranch_execz .LBB23_23
; %bb.25:                               ;   in Loop: Header=BB23_24 Depth=2
	v_mul_lo_u32 v8, v5, s18
	s_mov_b64 s[48:49], 0
	v_mov_b32_e32 v22, v17
	v_mov_b32_e32 v23, v16
	v_subrev_u32_e32 v8, s20, v8
	v_add_u32_e32 v9, s16, v8
	v_min_i32_e32 v9, s53, v9
	v_max_i32_e32 v20, 0, v8
	v_min_i32_e32 v21, s14, v9
	v_sub_u32_e32 v19, v9, v8
	v_mov_b32_e32 v9, v7
	v_cmp_gt_i32_e64 s[6:7], v21, v20
	v_sub_u32_e32 v20, v21, v20
	v_mov_b32_e32 v21, v18
	v_mov_b32_e32 v8, v6
	;; [unrolled: 1-line block ×3, first 2 shown]
	s_branch .LBB23_27
.LBB23_26:                              ;   in Loop: Header=BB23_27 Depth=3
	s_or_b64 exec, exec, s[50:51]
	v_add_co_u32_e32 v8, vcc, 2, v8
	v_add_u32_e32 v24, 1, v24
	v_addc_co_u32_e32 v9, vcc, 0, v9, vcc
	v_cmp_ge_i32_e32 vcc, v24, v15
	v_add_u32_e32 v23, s19, v23
	v_add_u32_e32 v22, s19, v22
	s_or_b64 s[48:49], vcc, s[48:49]
	v_subrev_u32_e32 v21, s19, v21
	s_andn2_b64 exec, exec, s[48:49]
	s_cbranch_execz .LBB23_22
.LBB23_27:                              ;   Parent Loop BB23_4 Depth=1
                                        ;     Parent Loop BB23_24 Depth=2
                                        ; =>    This Inner Loop Header: Depth=3
	v_add_u32_e32 v26, s17, v23
	v_mov_b32_e32 v27, s24
	v_max_i32_e32 v25, 0, v23
	v_min3_i32 v26, v26, s54, v27
	v_cmp_gt_i32_e32 vcc, v26, v25
	s_and_b64 s[60:61], s[6:7], vcc
	s_and_saveexec_b64 s[50:51], s[60:61]
	s_cbranch_execz .LBB23_26
; %bb.28:                               ;   in Loop: Header=BB23_27 Depth=3
	global_load_ushort v27, v[8:9], off
	v_min_i32_e32 v28, s54, v22
	v_sub_u32_e32 v25, v26, v25
	v_add_u32_e32 v26, v28, v21
	v_mul_lo_u32 v25, v25, v20
	v_mul_lo_u32 v26, v26, v19
	v_mov_b32_e32 v28, s34
	v_cndmask_b32_e64 v25, v25, v26, s[0:1]
	v_cndmask_b32_e64 v25, v25, v28, s[2:3]
	v_cvt_f32_i32_e32 v25, v25
	v_bfe_u32 v26, v25, 16, 1
	v_add3_u32 v25, v25, v26, s58
	v_and_b32_e32 v25, 0xffff0000, v25
	s_waitcnt vmcnt(0)
	v_lshlrev_b32_e32 v26, 16, v27
	v_div_scale_f32 v27, s[60:61], v25, v25, v26
	v_div_scale_f32 v28, vcc, v26, v25, v26
	v_rcp_f32_e32 v29, v27
	v_fma_f32 v30, -v27, v29, 1.0
	v_fmac_f32_e32 v29, v30, v29
	v_mul_f32_e32 v30, v28, v29
	v_fma_f32 v31, -v27, v30, v28
	v_fmac_f32_e32 v30, v31, v29
	v_fma_f32 v27, -v27, v30, v28
	v_div_fmas_f32 v27, v27, v29, v30
	v_div_fixup_f32 v25, v27, v25, v26
	v_bfe_u32 v26, v25, 16, 1
	v_add3_u32 v26, v25, v26, s58
	v_and_b32_e32 v26, 0xffff0000, v26
	v_cmp_o_f32_e32 vcc, v25, v25
	v_cndmask_b32_e32 v25, v12, v26, vcc
	v_add_f32_e32 v4, v4, v25
	s_branch .LBB23_26
.LBB23_29:
	s_endpgm
	.section	.rodata,"a",@progbits
	.p2align	6, 0x0
	.amdhsa_kernel _ZN2at6native12_GLOBAL__N_134avg_pool2d_backward_out_cuda_frameIN3c108BFloat16EflEEvT1_PKT_llllliiiiiiPS6_ibb
		.amdhsa_group_segment_fixed_size 0
		.amdhsa_private_segment_fixed_size 0
		.amdhsa_kernarg_size 352
		.amdhsa_user_sgpr_count 6
		.amdhsa_user_sgpr_private_segment_buffer 1
		.amdhsa_user_sgpr_dispatch_ptr 0
		.amdhsa_user_sgpr_queue_ptr 0
		.amdhsa_user_sgpr_kernarg_segment_ptr 1
		.amdhsa_user_sgpr_dispatch_id 0
		.amdhsa_user_sgpr_flat_scratch_init 0
		.amdhsa_user_sgpr_private_segment_size 0
		.amdhsa_uses_dynamic_stack 0
		.amdhsa_system_sgpr_private_segment_wavefront_offset 0
		.amdhsa_system_sgpr_workgroup_id_x 1
		.amdhsa_system_sgpr_workgroup_id_y 0
		.amdhsa_system_sgpr_workgroup_id_z 0
		.amdhsa_system_sgpr_workgroup_info 0
		.amdhsa_system_vgpr_workitem_id 0
		.amdhsa_next_free_vgpr 32
		.amdhsa_next_free_sgpr 62
		.amdhsa_reserve_vcc 1
		.amdhsa_reserve_flat_scratch 0
		.amdhsa_float_round_mode_32 0
		.amdhsa_float_round_mode_16_64 0
		.amdhsa_float_denorm_mode_32 3
		.amdhsa_float_denorm_mode_16_64 3
		.amdhsa_dx10_clamp 1
		.amdhsa_ieee_mode 1
		.amdhsa_fp16_overflow 0
		.amdhsa_exception_fp_ieee_invalid_op 0
		.amdhsa_exception_fp_denorm_src 0
		.amdhsa_exception_fp_ieee_div_zero 0
		.amdhsa_exception_fp_ieee_overflow 0
		.amdhsa_exception_fp_ieee_underflow 0
		.amdhsa_exception_fp_ieee_inexact 0
		.amdhsa_exception_int_div_zero 0
	.end_amdhsa_kernel
	.section	.text._ZN2at6native12_GLOBAL__N_134avg_pool2d_backward_out_cuda_frameIN3c108BFloat16EflEEvT1_PKT_llllliiiiiiPS6_ibb,"axG",@progbits,_ZN2at6native12_GLOBAL__N_134avg_pool2d_backward_out_cuda_frameIN3c108BFloat16EflEEvT1_PKT_llllliiiiiiPS6_ibb,comdat
.Lfunc_end23:
	.size	_ZN2at6native12_GLOBAL__N_134avg_pool2d_backward_out_cuda_frameIN3c108BFloat16EflEEvT1_PKT_llllliiiiiiPS6_ibb, .Lfunc_end23-_ZN2at6native12_GLOBAL__N_134avg_pool2d_backward_out_cuda_frameIN3c108BFloat16EflEEvT1_PKT_llllliiiiiiPS6_ibb
                                        ; -- End function
	.set _ZN2at6native12_GLOBAL__N_134avg_pool2d_backward_out_cuda_frameIN3c108BFloat16EflEEvT1_PKT_llllliiiiiiPS6_ibb.num_vgpr, 32
	.set _ZN2at6native12_GLOBAL__N_134avg_pool2d_backward_out_cuda_frameIN3c108BFloat16EflEEvT1_PKT_llllliiiiiiPS6_ibb.num_agpr, 0
	.set _ZN2at6native12_GLOBAL__N_134avg_pool2d_backward_out_cuda_frameIN3c108BFloat16EflEEvT1_PKT_llllliiiiiiPS6_ibb.numbered_sgpr, 62
	.set _ZN2at6native12_GLOBAL__N_134avg_pool2d_backward_out_cuda_frameIN3c108BFloat16EflEEvT1_PKT_llllliiiiiiPS6_ibb.num_named_barrier, 0
	.set _ZN2at6native12_GLOBAL__N_134avg_pool2d_backward_out_cuda_frameIN3c108BFloat16EflEEvT1_PKT_llllliiiiiiPS6_ibb.private_seg_size, 0
	.set _ZN2at6native12_GLOBAL__N_134avg_pool2d_backward_out_cuda_frameIN3c108BFloat16EflEEvT1_PKT_llllliiiiiiPS6_ibb.uses_vcc, 1
	.set _ZN2at6native12_GLOBAL__N_134avg_pool2d_backward_out_cuda_frameIN3c108BFloat16EflEEvT1_PKT_llllliiiiiiPS6_ibb.uses_flat_scratch, 0
	.set _ZN2at6native12_GLOBAL__N_134avg_pool2d_backward_out_cuda_frameIN3c108BFloat16EflEEvT1_PKT_llllliiiiiiPS6_ibb.has_dyn_sized_stack, 0
	.set _ZN2at6native12_GLOBAL__N_134avg_pool2d_backward_out_cuda_frameIN3c108BFloat16EflEEvT1_PKT_llllliiiiiiPS6_ibb.has_recursion, 0
	.set _ZN2at6native12_GLOBAL__N_134avg_pool2d_backward_out_cuda_frameIN3c108BFloat16EflEEvT1_PKT_llllliiiiiiPS6_ibb.has_indirect_call, 0
	.section	.AMDGPU.csdata,"",@progbits
; Kernel info:
; codeLenInByte = 3544
; TotalNumSgprs: 66
; NumVgprs: 32
; ScratchSize: 0
; MemoryBound: 0
; FloatMode: 240
; IeeeMode: 1
; LDSByteSize: 0 bytes/workgroup (compile time only)
; SGPRBlocks: 8
; VGPRBlocks: 7
; NumSGPRsForWavesPerEU: 66
; NumVGPRsForWavesPerEU: 32
; Occupancy: 8
; WaveLimiterHint : 0
; COMPUTE_PGM_RSRC2:SCRATCH_EN: 0
; COMPUTE_PGM_RSRC2:USER_SGPR: 6
; COMPUTE_PGM_RSRC2:TRAP_HANDLER: 0
; COMPUTE_PGM_RSRC2:TGID_X_EN: 1
; COMPUTE_PGM_RSRC2:TGID_Y_EN: 0
; COMPUTE_PGM_RSRC2:TGID_Z_EN: 0
; COMPUTE_PGM_RSRC2:TIDIG_COMP_CNT: 0
	.section	.AMDGPU.gpr_maximums,"",@progbits
	.set amdgpu.max_num_vgpr, 0
	.set amdgpu.max_num_agpr, 0
	.set amdgpu.max_num_sgpr, 0
	.section	.AMDGPU.csdata,"",@progbits
	.type	__hip_cuid_9d51ce2f65d77019,@object ; @__hip_cuid_9d51ce2f65d77019
	.section	.bss,"aw",@nobits
	.globl	__hip_cuid_9d51ce2f65d77019
__hip_cuid_9d51ce2f65d77019:
	.byte	0                               ; 0x0
	.size	__hip_cuid_9d51ce2f65d77019, 1

	.ident	"AMD clang version 22.0.0git (https://github.com/RadeonOpenCompute/llvm-project roc-7.2.4 26084 f58b06dce1f9c15707c5f808fd002e18c2accf7e)"
	.section	".note.GNU-stack","",@progbits
	.addrsig
	.addrsig_sym __hip_cuid_9d51ce2f65d77019
	.amdgpu_metadata
---
amdhsa.kernels:
  - .args:
      - .offset:         0
        .size:           4
        .value_kind:     by_value
      - .address_space:  global
        .offset:         8
        .size:           8
        .value_kind:     global_buffer
      - .offset:         16
        .size:           8
        .value_kind:     by_value
      - .offset:         24
        .size:           8
        .value_kind:     by_value
      - .offset:         32
        .size:           8
        .value_kind:     by_value
      - .offset:         40
        .size:           4
        .value_kind:     by_value
      - .offset:         44
        .size:           4
        .value_kind:     by_value
      - .offset:         48
        .size:           4
        .value_kind:     by_value
      - .offset:         52
        .size:           4
        .value_kind:     by_value
      - .offset:         56
        .size:           4
        .value_kind:     by_value
      - .offset:         60
        .size:           4
        .value_kind:     by_value
      - .offset:         64
        .size:           4
        .value_kind:     by_value
      - .offset:         68
        .size:           4
        .value_kind:     by_value
      - .address_space:  global
        .offset:         72
        .size:           8
        .value_kind:     global_buffer
      - .offset:         80
        .size:           4
        .value_kind:     by_value
      - .offset:         84
        .size:           1
        .value_kind:     by_value
      - .offset:         85
        .size:           1
        .value_kind:     by_value
      - .offset:         88
        .size:           4
        .value_kind:     hidden_block_count_x
      - .offset:         92
        .size:           4
        .value_kind:     hidden_block_count_y
      - .offset:         96
        .size:           4
        .value_kind:     hidden_block_count_z
      - .offset:         100
        .size:           2
        .value_kind:     hidden_group_size_x
      - .offset:         102
        .size:           2
        .value_kind:     hidden_group_size_y
      - .offset:         104
        .size:           2
        .value_kind:     hidden_group_size_z
      - .offset:         106
        .size:           2
        .value_kind:     hidden_remainder_x
      - .offset:         108
        .size:           2
        .value_kind:     hidden_remainder_y
      - .offset:         110
        .size:           2
        .value_kind:     hidden_remainder_z
      - .offset:         128
        .size:           8
        .value_kind:     hidden_global_offset_x
      - .offset:         136
        .size:           8
        .value_kind:     hidden_global_offset_y
      - .offset:         144
        .size:           8
        .value_kind:     hidden_global_offset_z
      - .offset:         152
        .size:           2
        .value_kind:     hidden_grid_dims
    .group_segment_fixed_size: 0
    .kernarg_segment_align: 8
    .kernarg_segment_size: 344
    .language:       OpenCL C
    .language_version:
      - 2
      - 0
    .max_flat_workgroup_size: 1024
    .name:           _ZN2at6native12_GLOBAL__N_130avg_pool2d_out_cuda_frame_nhwcIddEEviPKT_llliiiiiiiiPS3_ibb
    .private_segment_fixed_size: 0
    .sgpr_count:     58
    .sgpr_spill_count: 0
    .symbol:         _ZN2at6native12_GLOBAL__N_130avg_pool2d_out_cuda_frame_nhwcIddEEviPKT_llliiiiiiiiPS3_ibb.kd
    .uniform_work_group_size: 1
    .uses_dynamic_stack: false
    .vgpr_count:     24
    .vgpr_spill_count: 0
    .wavefront_size: 64
  - .args:
      - .offset:         0
        .size:           4
        .value_kind:     by_value
      - .address_space:  global
        .offset:         8
        .size:           8
        .value_kind:     global_buffer
      - .offset:         16
        .size:           8
        .value_kind:     by_value
      - .offset:         24
        .size:           8
        .value_kind:     by_value
      - .offset:         32
        .size:           8
        .value_kind:     by_value
      - .offset:         40
        .size:           8
        .value_kind:     by_value
      - .offset:         48
        .size:           4
        .value_kind:     by_value
      - .offset:         52
        .size:           4
        .value_kind:     by_value
      - .offset:         56
        .size:           4
        .value_kind:     by_value
      - .offset:         60
        .size:           4
        .value_kind:     by_value
      - .offset:         64
        .size:           4
        .value_kind:     by_value
      - .offset:         68
        .size:           4
        .value_kind:     by_value
      - .offset:         72
        .size:           4
        .value_kind:     by_value
      - .address_space:  global
        .offset:         80
        .size:           8
        .value_kind:     global_buffer
      - .offset:         88
        .size:           4
        .value_kind:     by_value
      - .offset:         92
        .size:           1
        .value_kind:     by_value
      - .offset:         93
        .size:           1
        .value_kind:     by_value
      - .offset:         96
        .size:           4
        .value_kind:     hidden_block_count_x
      - .offset:         100
        .size:           4
        .value_kind:     hidden_block_count_y
      - .offset:         104
        .size:           4
        .value_kind:     hidden_block_count_z
      - .offset:         108
        .size:           2
        .value_kind:     hidden_group_size_x
      - .offset:         110
        .size:           2
        .value_kind:     hidden_group_size_y
      - .offset:         112
        .size:           2
        .value_kind:     hidden_group_size_z
      - .offset:         114
        .size:           2
        .value_kind:     hidden_remainder_x
      - .offset:         116
        .size:           2
        .value_kind:     hidden_remainder_y
      - .offset:         118
        .size:           2
        .value_kind:     hidden_remainder_z
      - .offset:         136
        .size:           8
        .value_kind:     hidden_global_offset_x
      - .offset:         144
        .size:           8
        .value_kind:     hidden_global_offset_y
      - .offset:         152
        .size:           8
        .value_kind:     hidden_global_offset_z
      - .offset:         160
        .size:           2
        .value_kind:     hidden_grid_dims
    .group_segment_fixed_size: 0
    .kernarg_segment_align: 8
    .kernarg_segment_size: 352
    .language:       OpenCL C
    .language_version:
      - 2
      - 0
    .max_flat_workgroup_size: 1024
    .name:           _ZN2at6native12_GLOBAL__N_125avg_pool2d_out_cuda_frameIddEEviPKT_lllliiiiiiiPS3_ibb
    .private_segment_fixed_size: 0
    .sgpr_count:     54
    .sgpr_spill_count: 0
    .symbol:         _ZN2at6native12_GLOBAL__N_125avg_pool2d_out_cuda_frameIddEEviPKT_lllliiiiiiiPS3_ibb.kd
    .uniform_work_group_size: 1
    .uses_dynamic_stack: false
    .vgpr_count:     22
    .vgpr_spill_count: 0
    .wavefront_size: 64
  - .args:
      - .offset:         0
        .size:           4
        .value_kind:     by_value
      - .address_space:  global
        .offset:         8
        .size:           8
        .value_kind:     global_buffer
      - .offset:         16
        .size:           8
        .value_kind:     by_value
      - .offset:         24
        .size:           8
        .value_kind:     by_value
      - .offset:         32
        .size:           8
        .value_kind:     by_value
      - .offset:         40
        .size:           4
        .value_kind:     by_value
      - .offset:         44
        .size:           4
        .value_kind:     by_value
      - .offset:         48
        .size:           4
        .value_kind:     by_value
      - .offset:         52
        .size:           4
        .value_kind:     by_value
      - .offset:         56
        .size:           4
        .value_kind:     by_value
      - .offset:         60
        .size:           4
        .value_kind:     by_value
      - .offset:         64
        .size:           4
        .value_kind:     by_value
      - .offset:         68
        .size:           4
        .value_kind:     by_value
      - .address_space:  global
        .offset:         72
        .size:           8
        .value_kind:     global_buffer
      - .offset:         80
        .size:           4
        .value_kind:     by_value
      - .offset:         84
        .size:           1
        .value_kind:     by_value
      - .offset:         85
        .size:           1
        .value_kind:     by_value
      - .offset:         88
        .size:           4
        .value_kind:     hidden_block_count_x
      - .offset:         92
        .size:           4
        .value_kind:     hidden_block_count_y
      - .offset:         96
        .size:           4
        .value_kind:     hidden_block_count_z
      - .offset:         100
        .size:           2
        .value_kind:     hidden_group_size_x
      - .offset:         102
        .size:           2
        .value_kind:     hidden_group_size_y
      - .offset:         104
        .size:           2
        .value_kind:     hidden_group_size_z
      - .offset:         106
        .size:           2
        .value_kind:     hidden_remainder_x
      - .offset:         108
        .size:           2
        .value_kind:     hidden_remainder_y
      - .offset:         110
        .size:           2
        .value_kind:     hidden_remainder_z
      - .offset:         128
        .size:           8
        .value_kind:     hidden_global_offset_x
      - .offset:         136
        .size:           8
        .value_kind:     hidden_global_offset_y
      - .offset:         144
        .size:           8
        .value_kind:     hidden_global_offset_z
      - .offset:         152
        .size:           2
        .value_kind:     hidden_grid_dims
    .group_segment_fixed_size: 0
    .kernarg_segment_align: 8
    .kernarg_segment_size: 344
    .language:       OpenCL C
    .language_version:
      - 2
      - 0
    .max_flat_workgroup_size: 1024
    .name:           _ZN2at6native12_GLOBAL__N_130avg_pool2d_out_cuda_frame_nhwcIffEEviPKT_llliiiiiiiiPS3_ibb
    .private_segment_fixed_size: 0
    .sgpr_count:     58
    .sgpr_spill_count: 0
    .symbol:         _ZN2at6native12_GLOBAL__N_130avg_pool2d_out_cuda_frame_nhwcIffEEviPKT_llliiiiiiiiPS3_ibb.kd
    .uniform_work_group_size: 1
    .uses_dynamic_stack: false
    .vgpr_count:     22
    .vgpr_spill_count: 0
    .wavefront_size: 64
  - .args:
      - .offset:         0
        .size:           4
        .value_kind:     by_value
      - .address_space:  global
        .offset:         8
        .size:           8
        .value_kind:     global_buffer
      - .offset:         16
        .size:           8
        .value_kind:     by_value
      - .offset:         24
        .size:           8
        .value_kind:     by_value
      - .offset:         32
        .size:           8
        .value_kind:     by_value
      - .offset:         40
        .size:           8
        .value_kind:     by_value
      - .offset:         48
        .size:           4
        .value_kind:     by_value
      - .offset:         52
        .size:           4
        .value_kind:     by_value
      - .offset:         56
        .size:           4
        .value_kind:     by_value
      - .offset:         60
        .size:           4
        .value_kind:     by_value
      - .offset:         64
        .size:           4
        .value_kind:     by_value
      - .offset:         68
        .size:           4
        .value_kind:     by_value
      - .offset:         72
        .size:           4
        .value_kind:     by_value
      - .address_space:  global
        .offset:         80
        .size:           8
        .value_kind:     global_buffer
      - .offset:         88
        .size:           4
        .value_kind:     by_value
      - .offset:         92
        .size:           1
        .value_kind:     by_value
      - .offset:         93
        .size:           1
        .value_kind:     by_value
      - .offset:         96
        .size:           4
        .value_kind:     hidden_block_count_x
      - .offset:         100
        .size:           4
        .value_kind:     hidden_block_count_y
      - .offset:         104
        .size:           4
        .value_kind:     hidden_block_count_z
      - .offset:         108
        .size:           2
        .value_kind:     hidden_group_size_x
      - .offset:         110
        .size:           2
        .value_kind:     hidden_group_size_y
      - .offset:         112
        .size:           2
        .value_kind:     hidden_group_size_z
      - .offset:         114
        .size:           2
        .value_kind:     hidden_remainder_x
      - .offset:         116
        .size:           2
        .value_kind:     hidden_remainder_y
      - .offset:         118
        .size:           2
        .value_kind:     hidden_remainder_z
      - .offset:         136
        .size:           8
        .value_kind:     hidden_global_offset_x
      - .offset:         144
        .size:           8
        .value_kind:     hidden_global_offset_y
      - .offset:         152
        .size:           8
        .value_kind:     hidden_global_offset_z
      - .offset:         160
        .size:           2
        .value_kind:     hidden_grid_dims
    .group_segment_fixed_size: 0
    .kernarg_segment_align: 8
    .kernarg_segment_size: 352
    .language:       OpenCL C
    .language_version:
      - 2
      - 0
    .max_flat_workgroup_size: 1024
    .name:           _ZN2at6native12_GLOBAL__N_125avg_pool2d_out_cuda_frameIffEEviPKT_lllliiiiiiiPS3_ibb
    .private_segment_fixed_size: 0
    .sgpr_count:     54
    .sgpr_spill_count: 0
    .symbol:         _ZN2at6native12_GLOBAL__N_125avg_pool2d_out_cuda_frameIffEEviPKT_lllliiiiiiiPS3_ibb.kd
    .uniform_work_group_size: 1
    .uses_dynamic_stack: false
    .vgpr_count:     20
    .vgpr_spill_count: 0
    .wavefront_size: 64
  - .args:
      - .offset:         0
        .size:           4
        .value_kind:     by_value
      - .address_space:  global
        .offset:         8
        .size:           8
        .value_kind:     global_buffer
      - .offset:         16
        .size:           8
        .value_kind:     by_value
      - .offset:         24
        .size:           8
        .value_kind:     by_value
      - .offset:         32
        .size:           8
        .value_kind:     by_value
      - .offset:         40
        .size:           4
        .value_kind:     by_value
      - .offset:         44
        .size:           4
        .value_kind:     by_value
      - .offset:         48
        .size:           4
        .value_kind:     by_value
      - .offset:         52
        .size:           4
        .value_kind:     by_value
      - .offset:         56
        .size:           4
        .value_kind:     by_value
      - .offset:         60
        .size:           4
        .value_kind:     by_value
      - .offset:         64
        .size:           4
        .value_kind:     by_value
      - .offset:         68
        .size:           4
        .value_kind:     by_value
      - .address_space:  global
        .offset:         72
        .size:           8
        .value_kind:     global_buffer
      - .offset:         80
        .size:           4
        .value_kind:     by_value
      - .offset:         84
        .size:           1
        .value_kind:     by_value
      - .offset:         85
        .size:           1
        .value_kind:     by_value
      - .offset:         88
        .size:           4
        .value_kind:     hidden_block_count_x
      - .offset:         92
        .size:           4
        .value_kind:     hidden_block_count_y
      - .offset:         96
        .size:           4
        .value_kind:     hidden_block_count_z
      - .offset:         100
        .size:           2
        .value_kind:     hidden_group_size_x
      - .offset:         102
        .size:           2
        .value_kind:     hidden_group_size_y
      - .offset:         104
        .size:           2
        .value_kind:     hidden_group_size_z
      - .offset:         106
        .size:           2
        .value_kind:     hidden_remainder_x
      - .offset:         108
        .size:           2
        .value_kind:     hidden_remainder_y
      - .offset:         110
        .size:           2
        .value_kind:     hidden_remainder_z
      - .offset:         128
        .size:           8
        .value_kind:     hidden_global_offset_x
      - .offset:         136
        .size:           8
        .value_kind:     hidden_global_offset_y
      - .offset:         144
        .size:           8
        .value_kind:     hidden_global_offset_z
      - .offset:         152
        .size:           2
        .value_kind:     hidden_grid_dims
    .group_segment_fixed_size: 0
    .kernarg_segment_align: 8
    .kernarg_segment_size: 344
    .language:       OpenCL C
    .language_version:
      - 2
      - 0
    .max_flat_workgroup_size: 1024
    .name:           _ZN2at6native12_GLOBAL__N_130avg_pool2d_out_cuda_frame_nhwcIN3c104HalfEfEEviPKT_llliiiiiiiiPS5_ibb
    .private_segment_fixed_size: 0
    .sgpr_count:     58
    .sgpr_spill_count: 0
    .symbol:         _ZN2at6native12_GLOBAL__N_130avg_pool2d_out_cuda_frame_nhwcIN3c104HalfEfEEviPKT_llliiiiiiiiPS5_ibb.kd
    .uniform_work_group_size: 1
    .uses_dynamic_stack: false
    .vgpr_count:     22
    .vgpr_spill_count: 0
    .wavefront_size: 64
  - .args:
      - .offset:         0
        .size:           4
        .value_kind:     by_value
      - .address_space:  global
        .offset:         8
        .size:           8
        .value_kind:     global_buffer
      - .offset:         16
        .size:           8
        .value_kind:     by_value
      - .offset:         24
        .size:           8
        .value_kind:     by_value
      - .offset:         32
        .size:           8
        .value_kind:     by_value
      - .offset:         40
        .size:           8
        .value_kind:     by_value
      - .offset:         48
        .size:           4
        .value_kind:     by_value
      - .offset:         52
        .size:           4
        .value_kind:     by_value
      - .offset:         56
        .size:           4
        .value_kind:     by_value
      - .offset:         60
        .size:           4
        .value_kind:     by_value
      - .offset:         64
        .size:           4
        .value_kind:     by_value
      - .offset:         68
        .size:           4
        .value_kind:     by_value
      - .offset:         72
        .size:           4
        .value_kind:     by_value
      - .address_space:  global
        .offset:         80
        .size:           8
        .value_kind:     global_buffer
      - .offset:         88
        .size:           4
        .value_kind:     by_value
      - .offset:         92
        .size:           1
        .value_kind:     by_value
      - .offset:         93
        .size:           1
        .value_kind:     by_value
      - .offset:         96
        .size:           4
        .value_kind:     hidden_block_count_x
      - .offset:         100
        .size:           4
        .value_kind:     hidden_block_count_y
      - .offset:         104
        .size:           4
        .value_kind:     hidden_block_count_z
      - .offset:         108
        .size:           2
        .value_kind:     hidden_group_size_x
      - .offset:         110
        .size:           2
        .value_kind:     hidden_group_size_y
      - .offset:         112
        .size:           2
        .value_kind:     hidden_group_size_z
      - .offset:         114
        .size:           2
        .value_kind:     hidden_remainder_x
      - .offset:         116
        .size:           2
        .value_kind:     hidden_remainder_y
      - .offset:         118
        .size:           2
        .value_kind:     hidden_remainder_z
      - .offset:         136
        .size:           8
        .value_kind:     hidden_global_offset_x
      - .offset:         144
        .size:           8
        .value_kind:     hidden_global_offset_y
      - .offset:         152
        .size:           8
        .value_kind:     hidden_global_offset_z
      - .offset:         160
        .size:           2
        .value_kind:     hidden_grid_dims
    .group_segment_fixed_size: 0
    .kernarg_segment_align: 8
    .kernarg_segment_size: 352
    .language:       OpenCL C
    .language_version:
      - 2
      - 0
    .max_flat_workgroup_size: 1024
    .name:           _ZN2at6native12_GLOBAL__N_125avg_pool2d_out_cuda_frameIN3c104HalfEfEEviPKT_lllliiiiiiiPS5_ibb
    .private_segment_fixed_size: 0
    .sgpr_count:     54
    .sgpr_spill_count: 0
    .symbol:         _ZN2at6native12_GLOBAL__N_125avg_pool2d_out_cuda_frameIN3c104HalfEfEEviPKT_lllliiiiiiiPS5_ibb.kd
    .uniform_work_group_size: 1
    .uses_dynamic_stack: false
    .vgpr_count:     22
    .vgpr_spill_count: 0
    .wavefront_size: 64
  - .args:
      - .offset:         0
        .size:           4
        .value_kind:     by_value
      - .address_space:  global
        .offset:         8
        .size:           8
        .value_kind:     global_buffer
      - .offset:         16
        .size:           8
        .value_kind:     by_value
      - .offset:         24
        .size:           8
        .value_kind:     by_value
      - .offset:         32
        .size:           8
        .value_kind:     by_value
      - .offset:         40
        .size:           4
        .value_kind:     by_value
      - .offset:         44
        .size:           4
        .value_kind:     by_value
      - .offset:         48
        .size:           4
        .value_kind:     by_value
      - .offset:         52
        .size:           4
        .value_kind:     by_value
      - .offset:         56
        .size:           4
        .value_kind:     by_value
      - .offset:         60
        .size:           4
        .value_kind:     by_value
      - .offset:         64
        .size:           4
        .value_kind:     by_value
      - .offset:         68
        .size:           4
        .value_kind:     by_value
      - .address_space:  global
        .offset:         72
        .size:           8
        .value_kind:     global_buffer
      - .offset:         80
        .size:           4
        .value_kind:     by_value
      - .offset:         84
        .size:           1
        .value_kind:     by_value
      - .offset:         85
        .size:           1
        .value_kind:     by_value
      - .offset:         88
        .size:           4
        .value_kind:     hidden_block_count_x
      - .offset:         92
        .size:           4
        .value_kind:     hidden_block_count_y
      - .offset:         96
        .size:           4
        .value_kind:     hidden_block_count_z
      - .offset:         100
        .size:           2
        .value_kind:     hidden_group_size_x
      - .offset:         102
        .size:           2
        .value_kind:     hidden_group_size_y
      - .offset:         104
        .size:           2
        .value_kind:     hidden_group_size_z
      - .offset:         106
        .size:           2
        .value_kind:     hidden_remainder_x
      - .offset:         108
        .size:           2
        .value_kind:     hidden_remainder_y
      - .offset:         110
        .size:           2
        .value_kind:     hidden_remainder_z
      - .offset:         128
        .size:           8
        .value_kind:     hidden_global_offset_x
      - .offset:         136
        .size:           8
        .value_kind:     hidden_global_offset_y
      - .offset:         144
        .size:           8
        .value_kind:     hidden_global_offset_z
      - .offset:         152
        .size:           2
        .value_kind:     hidden_grid_dims
    .group_segment_fixed_size: 0
    .kernarg_segment_align: 8
    .kernarg_segment_size: 344
    .language:       OpenCL C
    .language_version:
      - 2
      - 0
    .max_flat_workgroup_size: 1024
    .name:           _ZN2at6native12_GLOBAL__N_130avg_pool2d_out_cuda_frame_nhwcIN3c108BFloat16EfEEviPKT_llliiiiiiiiPS5_ibb
    .private_segment_fixed_size: 0
    .sgpr_count:     59
    .sgpr_spill_count: 0
    .symbol:         _ZN2at6native12_GLOBAL__N_130avg_pool2d_out_cuda_frame_nhwcIN3c108BFloat16EfEEviPKT_llliiiiiiiiPS5_ibb.kd
    .uniform_work_group_size: 1
    .uses_dynamic_stack: false
    .vgpr_count:     23
    .vgpr_spill_count: 0
    .wavefront_size: 64
  - .args:
      - .offset:         0
        .size:           4
        .value_kind:     by_value
      - .address_space:  global
        .offset:         8
        .size:           8
        .value_kind:     global_buffer
      - .offset:         16
        .size:           8
        .value_kind:     by_value
      - .offset:         24
        .size:           8
        .value_kind:     by_value
      - .offset:         32
        .size:           8
        .value_kind:     by_value
      - .offset:         40
        .size:           8
        .value_kind:     by_value
      - .offset:         48
        .size:           4
        .value_kind:     by_value
      - .offset:         52
        .size:           4
        .value_kind:     by_value
      - .offset:         56
        .size:           4
        .value_kind:     by_value
      - .offset:         60
        .size:           4
        .value_kind:     by_value
      - .offset:         64
        .size:           4
        .value_kind:     by_value
      - .offset:         68
        .size:           4
        .value_kind:     by_value
      - .offset:         72
        .size:           4
        .value_kind:     by_value
      - .address_space:  global
        .offset:         80
        .size:           8
        .value_kind:     global_buffer
      - .offset:         88
        .size:           4
        .value_kind:     by_value
      - .offset:         92
        .size:           1
        .value_kind:     by_value
      - .offset:         93
        .size:           1
        .value_kind:     by_value
      - .offset:         96
        .size:           4
        .value_kind:     hidden_block_count_x
      - .offset:         100
        .size:           4
        .value_kind:     hidden_block_count_y
      - .offset:         104
        .size:           4
        .value_kind:     hidden_block_count_z
      - .offset:         108
        .size:           2
        .value_kind:     hidden_group_size_x
      - .offset:         110
        .size:           2
        .value_kind:     hidden_group_size_y
      - .offset:         112
        .size:           2
        .value_kind:     hidden_group_size_z
      - .offset:         114
        .size:           2
        .value_kind:     hidden_remainder_x
      - .offset:         116
        .size:           2
        .value_kind:     hidden_remainder_y
      - .offset:         118
        .size:           2
        .value_kind:     hidden_remainder_z
      - .offset:         136
        .size:           8
        .value_kind:     hidden_global_offset_x
      - .offset:         144
        .size:           8
        .value_kind:     hidden_global_offset_y
      - .offset:         152
        .size:           8
        .value_kind:     hidden_global_offset_z
      - .offset:         160
        .size:           2
        .value_kind:     hidden_grid_dims
    .group_segment_fixed_size: 0
    .kernarg_segment_align: 8
    .kernarg_segment_size: 352
    .language:       OpenCL C
    .language_version:
      - 2
      - 0
    .max_flat_workgroup_size: 1024
    .name:           _ZN2at6native12_GLOBAL__N_125avg_pool2d_out_cuda_frameIN3c108BFloat16EfEEviPKT_lllliiiiiiiPS5_ibb
    .private_segment_fixed_size: 0
    .sgpr_count:     55
    .sgpr_spill_count: 0
    .symbol:         _ZN2at6native12_GLOBAL__N_125avg_pool2d_out_cuda_frameIN3c108BFloat16EfEEviPKT_lllliiiiiiiPS5_ibb.kd
    .uniform_work_group_size: 1
    .uses_dynamic_stack: false
    .vgpr_count:     21
    .vgpr_spill_count: 0
    .wavefront_size: 64
  - .args:
      - .offset:         0
        .size:           4
        .value_kind:     by_value
      - .address_space:  global
        .offset:         8
        .size:           8
        .value_kind:     global_buffer
      - .offset:         16
        .size:           8
        .value_kind:     by_value
      - .offset:         24
        .size:           8
        .value_kind:     by_value
      - .offset:         32
        .size:           8
        .value_kind:     by_value
      - .offset:         40
        .size:           4
        .value_kind:     by_value
      - .offset:         44
        .size:           4
        .value_kind:     by_value
      - .offset:         48
        .size:           4
        .value_kind:     by_value
      - .offset:         52
        .size:           4
        .value_kind:     by_value
      - .offset:         56
        .size:           4
        .value_kind:     by_value
      - .offset:         60
        .size:           4
        .value_kind:     by_value
      - .offset:         64
        .size:           4
        .value_kind:     by_value
      - .offset:         68
        .size:           4
        .value_kind:     by_value
      - .address_space:  global
        .offset:         72
        .size:           8
        .value_kind:     global_buffer
      - .offset:         80
        .size:           4
        .value_kind:     by_value
      - .offset:         84
        .size:           1
        .value_kind:     by_value
      - .offset:         85
        .size:           1
        .value_kind:     by_value
      - .offset:         88
        .size:           4
        .value_kind:     hidden_block_count_x
      - .offset:         92
        .size:           4
        .value_kind:     hidden_block_count_y
      - .offset:         96
        .size:           4
        .value_kind:     hidden_block_count_z
      - .offset:         100
        .size:           2
        .value_kind:     hidden_group_size_x
      - .offset:         102
        .size:           2
        .value_kind:     hidden_group_size_y
      - .offset:         104
        .size:           2
        .value_kind:     hidden_group_size_z
      - .offset:         106
        .size:           2
        .value_kind:     hidden_remainder_x
      - .offset:         108
        .size:           2
        .value_kind:     hidden_remainder_y
      - .offset:         110
        .size:           2
        .value_kind:     hidden_remainder_z
      - .offset:         128
        .size:           8
        .value_kind:     hidden_global_offset_x
      - .offset:         136
        .size:           8
        .value_kind:     hidden_global_offset_y
      - .offset:         144
        .size:           8
        .value_kind:     hidden_global_offset_z
      - .offset:         152
        .size:           2
        .value_kind:     hidden_grid_dims
    .group_segment_fixed_size: 0
    .kernarg_segment_align: 8
    .kernarg_segment_size: 344
    .language:       OpenCL C
    .language_version:
      - 2
      - 0
    .max_flat_workgroup_size: 1024
    .name:           _ZN2at6native12_GLOBAL__N_139avg_pool2d_backward_out_cuda_frame_nhwcIddiEEvT1_PKT_llliiiiiiiiPS4_ibb
    .private_segment_fixed_size: 0
    .sgpr_count:     62
    .sgpr_spill_count: 0
    .symbol:         _ZN2at6native12_GLOBAL__N_139avg_pool2d_backward_out_cuda_frame_nhwcIddiEEvT1_PKT_llliiiiiiiiPS4_ibb.kd
    .uniform_work_group_size: 1
    .uses_dynamic_stack: false
    .vgpr_count:     35
    .vgpr_spill_count: 0
    .wavefront_size: 64
  - .args:
      - .offset:         0
        .size:           4
        .value_kind:     by_value
      - .address_space:  global
        .offset:         8
        .size:           8
        .value_kind:     global_buffer
      - .offset:         16
        .size:           8
        .value_kind:     by_value
      - .offset:         24
        .size:           8
        .value_kind:     by_value
      - .offset:         32
        .size:           8
        .value_kind:     by_value
      - .offset:         40
        .size:           8
        .value_kind:     by_value
      - .offset:         48
        .size:           8
        .value_kind:     by_value
      - .offset:         56
        .size:           4
        .value_kind:     by_value
      - .offset:         60
        .size:           4
        .value_kind:     by_value
      - .offset:         64
        .size:           4
        .value_kind:     by_value
      - .offset:         68
        .size:           4
        .value_kind:     by_value
      - .offset:         72
        .size:           4
        .value_kind:     by_value
      - .offset:         76
        .size:           4
        .value_kind:     by_value
      - .address_space:  global
        .offset:         80
        .size:           8
        .value_kind:     global_buffer
      - .offset:         88
        .size:           4
        .value_kind:     by_value
      - .offset:         92
        .size:           1
        .value_kind:     by_value
      - .offset:         93
        .size:           1
        .value_kind:     by_value
      - .offset:         96
        .size:           4
        .value_kind:     hidden_block_count_x
      - .offset:         100
        .size:           4
        .value_kind:     hidden_block_count_y
      - .offset:         104
        .size:           4
        .value_kind:     hidden_block_count_z
      - .offset:         108
        .size:           2
        .value_kind:     hidden_group_size_x
      - .offset:         110
        .size:           2
        .value_kind:     hidden_group_size_y
      - .offset:         112
        .size:           2
        .value_kind:     hidden_group_size_z
      - .offset:         114
        .size:           2
        .value_kind:     hidden_remainder_x
      - .offset:         116
        .size:           2
        .value_kind:     hidden_remainder_y
      - .offset:         118
        .size:           2
        .value_kind:     hidden_remainder_z
      - .offset:         136
        .size:           8
        .value_kind:     hidden_global_offset_x
      - .offset:         144
        .size:           8
        .value_kind:     hidden_global_offset_y
      - .offset:         152
        .size:           8
        .value_kind:     hidden_global_offset_z
      - .offset:         160
        .size:           2
        .value_kind:     hidden_grid_dims
    .group_segment_fixed_size: 0
    .kernarg_segment_align: 8
    .kernarg_segment_size: 352
    .language:       OpenCL C
    .language_version:
      - 2
      - 0
    .max_flat_workgroup_size: 1024
    .name:           _ZN2at6native12_GLOBAL__N_134avg_pool2d_backward_out_cuda_frameIddiEEvT1_PKT_llllliiiiiiPS4_ibb
    .private_segment_fixed_size: 0
    .sgpr_count:     62
    .sgpr_spill_count: 0
    .symbol:         _ZN2at6native12_GLOBAL__N_134avg_pool2d_backward_out_cuda_frameIddiEEvT1_PKT_llllliiiiiiPS4_ibb.kd
    .uniform_work_group_size: 1
    .uses_dynamic_stack: false
    .vgpr_count:     36
    .vgpr_spill_count: 0
    .wavefront_size: 64
  - .args:
      - .offset:         0
        .size:           8
        .value_kind:     by_value
      - .address_space:  global
        .offset:         8
        .size:           8
        .value_kind:     global_buffer
      - .offset:         16
        .size:           8
        .value_kind:     by_value
      - .offset:         24
        .size:           8
        .value_kind:     by_value
      - .offset:         32
        .size:           8
        .value_kind:     by_value
      - .offset:         40
        .size:           4
        .value_kind:     by_value
      - .offset:         44
        .size:           4
        .value_kind:     by_value
      - .offset:         48
        .size:           4
        .value_kind:     by_value
      - .offset:         52
        .size:           4
        .value_kind:     by_value
      - .offset:         56
        .size:           4
        .value_kind:     by_value
      - .offset:         60
        .size:           4
        .value_kind:     by_value
      - .offset:         64
        .size:           4
        .value_kind:     by_value
      - .offset:         68
        .size:           4
        .value_kind:     by_value
      - .address_space:  global
        .offset:         72
        .size:           8
        .value_kind:     global_buffer
      - .offset:         80
        .size:           4
        .value_kind:     by_value
      - .offset:         84
        .size:           1
        .value_kind:     by_value
      - .offset:         85
        .size:           1
        .value_kind:     by_value
      - .offset:         88
        .size:           4
        .value_kind:     hidden_block_count_x
      - .offset:         92
        .size:           4
        .value_kind:     hidden_block_count_y
      - .offset:         96
        .size:           4
        .value_kind:     hidden_block_count_z
      - .offset:         100
        .size:           2
        .value_kind:     hidden_group_size_x
      - .offset:         102
        .size:           2
        .value_kind:     hidden_group_size_y
      - .offset:         104
        .size:           2
        .value_kind:     hidden_group_size_z
      - .offset:         106
        .size:           2
        .value_kind:     hidden_remainder_x
      - .offset:         108
        .size:           2
        .value_kind:     hidden_remainder_y
      - .offset:         110
        .size:           2
        .value_kind:     hidden_remainder_z
      - .offset:         128
        .size:           8
        .value_kind:     hidden_global_offset_x
      - .offset:         136
        .size:           8
        .value_kind:     hidden_global_offset_y
      - .offset:         144
        .size:           8
        .value_kind:     hidden_global_offset_z
      - .offset:         152
        .size:           2
        .value_kind:     hidden_grid_dims
    .group_segment_fixed_size: 0
    .kernarg_segment_align: 8
    .kernarg_segment_size: 344
    .language:       OpenCL C
    .language_version:
      - 2
      - 0
    .max_flat_workgroup_size: 1024
    .name:           _ZN2at6native12_GLOBAL__N_139avg_pool2d_backward_out_cuda_frame_nhwcIddlEEvT1_PKT_llliiiiiiiiPS4_ibb
    .private_segment_fixed_size: 0
    .sgpr_count:     62
    .sgpr_spill_count: 0
    .symbol:         _ZN2at6native12_GLOBAL__N_139avg_pool2d_backward_out_cuda_frame_nhwcIddlEEvT1_PKT_llliiiiiiiiPS4_ibb.kd
    .uniform_work_group_size: 1
    .uses_dynamic_stack: false
    .vgpr_count:     35
    .vgpr_spill_count: 0
    .wavefront_size: 64
  - .args:
      - .offset:         0
        .size:           8
        .value_kind:     by_value
      - .address_space:  global
        .offset:         8
        .size:           8
        .value_kind:     global_buffer
      - .offset:         16
        .size:           8
        .value_kind:     by_value
      - .offset:         24
        .size:           8
        .value_kind:     by_value
      - .offset:         32
        .size:           8
        .value_kind:     by_value
      - .offset:         40
        .size:           8
        .value_kind:     by_value
      - .offset:         48
        .size:           8
        .value_kind:     by_value
      - .offset:         56
        .size:           4
        .value_kind:     by_value
      - .offset:         60
        .size:           4
        .value_kind:     by_value
      - .offset:         64
        .size:           4
        .value_kind:     by_value
      - .offset:         68
        .size:           4
        .value_kind:     by_value
      - .offset:         72
        .size:           4
        .value_kind:     by_value
      - .offset:         76
        .size:           4
        .value_kind:     by_value
      - .address_space:  global
        .offset:         80
        .size:           8
        .value_kind:     global_buffer
      - .offset:         88
        .size:           4
        .value_kind:     by_value
      - .offset:         92
        .size:           1
        .value_kind:     by_value
      - .offset:         93
        .size:           1
        .value_kind:     by_value
      - .offset:         96
        .size:           4
        .value_kind:     hidden_block_count_x
      - .offset:         100
        .size:           4
        .value_kind:     hidden_block_count_y
      - .offset:         104
        .size:           4
        .value_kind:     hidden_block_count_z
      - .offset:         108
        .size:           2
        .value_kind:     hidden_group_size_x
      - .offset:         110
        .size:           2
        .value_kind:     hidden_group_size_y
      - .offset:         112
        .size:           2
        .value_kind:     hidden_group_size_z
      - .offset:         114
        .size:           2
        .value_kind:     hidden_remainder_x
      - .offset:         116
        .size:           2
        .value_kind:     hidden_remainder_y
      - .offset:         118
        .size:           2
        .value_kind:     hidden_remainder_z
      - .offset:         136
        .size:           8
        .value_kind:     hidden_global_offset_x
      - .offset:         144
        .size:           8
        .value_kind:     hidden_global_offset_y
      - .offset:         152
        .size:           8
        .value_kind:     hidden_global_offset_z
      - .offset:         160
        .size:           2
        .value_kind:     hidden_grid_dims
    .group_segment_fixed_size: 0
    .kernarg_segment_align: 8
    .kernarg_segment_size: 352
    .language:       OpenCL C
    .language_version:
      - 2
      - 0
    .max_flat_workgroup_size: 1024
    .name:           _ZN2at6native12_GLOBAL__N_134avg_pool2d_backward_out_cuda_frameIddlEEvT1_PKT_llllliiiiiiPS4_ibb
    .private_segment_fixed_size: 0
    .sgpr_count:     64
    .sgpr_spill_count: 0
    .symbol:         _ZN2at6native12_GLOBAL__N_134avg_pool2d_backward_out_cuda_frameIddlEEvT1_PKT_llllliiiiiiPS4_ibb.kd
    .uniform_work_group_size: 1
    .uses_dynamic_stack: false
    .vgpr_count:     36
    .vgpr_spill_count: 0
    .wavefront_size: 64
  - .args:
      - .offset:         0
        .size:           4
        .value_kind:     by_value
      - .address_space:  global
        .offset:         8
        .size:           8
        .value_kind:     global_buffer
      - .offset:         16
        .size:           8
        .value_kind:     by_value
      - .offset:         24
        .size:           8
        .value_kind:     by_value
      - .offset:         32
        .size:           8
        .value_kind:     by_value
      - .offset:         40
        .size:           4
        .value_kind:     by_value
      - .offset:         44
        .size:           4
        .value_kind:     by_value
      - .offset:         48
        .size:           4
        .value_kind:     by_value
      - .offset:         52
        .size:           4
        .value_kind:     by_value
      - .offset:         56
        .size:           4
        .value_kind:     by_value
      - .offset:         60
        .size:           4
        .value_kind:     by_value
      - .offset:         64
        .size:           4
        .value_kind:     by_value
      - .offset:         68
        .size:           4
        .value_kind:     by_value
      - .address_space:  global
        .offset:         72
        .size:           8
        .value_kind:     global_buffer
      - .offset:         80
        .size:           4
        .value_kind:     by_value
      - .offset:         84
        .size:           1
        .value_kind:     by_value
      - .offset:         85
        .size:           1
        .value_kind:     by_value
      - .offset:         88
        .size:           4
        .value_kind:     hidden_block_count_x
      - .offset:         92
        .size:           4
        .value_kind:     hidden_block_count_y
      - .offset:         96
        .size:           4
        .value_kind:     hidden_block_count_z
      - .offset:         100
        .size:           2
        .value_kind:     hidden_group_size_x
      - .offset:         102
        .size:           2
        .value_kind:     hidden_group_size_y
      - .offset:         104
        .size:           2
        .value_kind:     hidden_group_size_z
      - .offset:         106
        .size:           2
        .value_kind:     hidden_remainder_x
      - .offset:         108
        .size:           2
        .value_kind:     hidden_remainder_y
      - .offset:         110
        .size:           2
        .value_kind:     hidden_remainder_z
      - .offset:         128
        .size:           8
        .value_kind:     hidden_global_offset_x
      - .offset:         136
        .size:           8
        .value_kind:     hidden_global_offset_y
      - .offset:         144
        .size:           8
        .value_kind:     hidden_global_offset_z
      - .offset:         152
        .size:           2
        .value_kind:     hidden_grid_dims
    .group_segment_fixed_size: 0
    .kernarg_segment_align: 8
    .kernarg_segment_size: 344
    .language:       OpenCL C
    .language_version:
      - 2
      - 0
    .max_flat_workgroup_size: 1024
    .name:           _ZN2at6native12_GLOBAL__N_139avg_pool2d_backward_out_cuda_frame_nhwcIffiEEvT1_PKT_llliiiiiiiiPS4_ibb
    .private_segment_fixed_size: 0
    .sgpr_count:     62
    .sgpr_spill_count: 0
    .symbol:         _ZN2at6native12_GLOBAL__N_139avg_pool2d_backward_out_cuda_frame_nhwcIffiEEvT1_PKT_llliiiiiiiiPS4_ibb.kd
    .uniform_work_group_size: 1
    .uses_dynamic_stack: false
    .vgpr_count:     29
    .vgpr_spill_count: 0
    .wavefront_size: 64
  - .args:
      - .offset:         0
        .size:           4
        .value_kind:     by_value
      - .address_space:  global
        .offset:         8
        .size:           8
        .value_kind:     global_buffer
      - .offset:         16
        .size:           8
        .value_kind:     by_value
      - .offset:         24
        .size:           8
        .value_kind:     by_value
      - .offset:         32
        .size:           8
        .value_kind:     by_value
      - .offset:         40
        .size:           8
        .value_kind:     by_value
      - .offset:         48
        .size:           8
        .value_kind:     by_value
      - .offset:         56
        .size:           4
        .value_kind:     by_value
      - .offset:         60
        .size:           4
        .value_kind:     by_value
      - .offset:         64
        .size:           4
        .value_kind:     by_value
      - .offset:         68
        .size:           4
        .value_kind:     by_value
      - .offset:         72
        .size:           4
        .value_kind:     by_value
      - .offset:         76
        .size:           4
        .value_kind:     by_value
      - .address_space:  global
        .offset:         80
        .size:           8
        .value_kind:     global_buffer
      - .offset:         88
        .size:           4
        .value_kind:     by_value
      - .offset:         92
        .size:           1
        .value_kind:     by_value
      - .offset:         93
        .size:           1
        .value_kind:     by_value
      - .offset:         96
        .size:           4
        .value_kind:     hidden_block_count_x
      - .offset:         100
        .size:           4
        .value_kind:     hidden_block_count_y
      - .offset:         104
        .size:           4
        .value_kind:     hidden_block_count_z
      - .offset:         108
        .size:           2
        .value_kind:     hidden_group_size_x
      - .offset:         110
        .size:           2
        .value_kind:     hidden_group_size_y
      - .offset:         112
        .size:           2
        .value_kind:     hidden_group_size_z
      - .offset:         114
        .size:           2
        .value_kind:     hidden_remainder_x
      - .offset:         116
        .size:           2
        .value_kind:     hidden_remainder_y
      - .offset:         118
        .size:           2
        .value_kind:     hidden_remainder_z
      - .offset:         136
        .size:           8
        .value_kind:     hidden_global_offset_x
      - .offset:         144
        .size:           8
        .value_kind:     hidden_global_offset_y
      - .offset:         152
        .size:           8
        .value_kind:     hidden_global_offset_z
      - .offset:         160
        .size:           2
        .value_kind:     hidden_grid_dims
    .group_segment_fixed_size: 0
    .kernarg_segment_align: 8
    .kernarg_segment_size: 352
    .language:       OpenCL C
    .language_version:
      - 2
      - 0
    .max_flat_workgroup_size: 1024
    .name:           _ZN2at6native12_GLOBAL__N_134avg_pool2d_backward_out_cuda_frameIffiEEvT1_PKT_llllliiiiiiPS4_ibb
    .private_segment_fixed_size: 0
    .sgpr_count:     62
    .sgpr_spill_count: 0
    .symbol:         _ZN2at6native12_GLOBAL__N_134avg_pool2d_backward_out_cuda_frameIffiEEvT1_PKT_llllliiiiiiPS4_ibb.kd
    .uniform_work_group_size: 1
    .uses_dynamic_stack: false
    .vgpr_count:     30
    .vgpr_spill_count: 0
    .wavefront_size: 64
  - .args:
      - .offset:         0
        .size:           8
        .value_kind:     by_value
      - .address_space:  global
        .offset:         8
        .size:           8
        .value_kind:     global_buffer
      - .offset:         16
        .size:           8
        .value_kind:     by_value
      - .offset:         24
        .size:           8
        .value_kind:     by_value
      - .offset:         32
        .size:           8
        .value_kind:     by_value
      - .offset:         40
        .size:           4
        .value_kind:     by_value
      - .offset:         44
        .size:           4
        .value_kind:     by_value
      - .offset:         48
        .size:           4
        .value_kind:     by_value
      - .offset:         52
        .size:           4
        .value_kind:     by_value
      - .offset:         56
        .size:           4
        .value_kind:     by_value
      - .offset:         60
        .size:           4
        .value_kind:     by_value
      - .offset:         64
        .size:           4
        .value_kind:     by_value
      - .offset:         68
        .size:           4
        .value_kind:     by_value
      - .address_space:  global
        .offset:         72
        .size:           8
        .value_kind:     global_buffer
      - .offset:         80
        .size:           4
        .value_kind:     by_value
      - .offset:         84
        .size:           1
        .value_kind:     by_value
      - .offset:         85
        .size:           1
        .value_kind:     by_value
      - .offset:         88
        .size:           4
        .value_kind:     hidden_block_count_x
      - .offset:         92
        .size:           4
        .value_kind:     hidden_block_count_y
      - .offset:         96
        .size:           4
        .value_kind:     hidden_block_count_z
      - .offset:         100
        .size:           2
        .value_kind:     hidden_group_size_x
      - .offset:         102
        .size:           2
        .value_kind:     hidden_group_size_y
      - .offset:         104
        .size:           2
        .value_kind:     hidden_group_size_z
      - .offset:         106
        .size:           2
        .value_kind:     hidden_remainder_x
      - .offset:         108
        .size:           2
        .value_kind:     hidden_remainder_y
      - .offset:         110
        .size:           2
        .value_kind:     hidden_remainder_z
      - .offset:         128
        .size:           8
        .value_kind:     hidden_global_offset_x
      - .offset:         136
        .size:           8
        .value_kind:     hidden_global_offset_y
      - .offset:         144
        .size:           8
        .value_kind:     hidden_global_offset_z
      - .offset:         152
        .size:           2
        .value_kind:     hidden_grid_dims
    .group_segment_fixed_size: 0
    .kernarg_segment_align: 8
    .kernarg_segment_size: 344
    .language:       OpenCL C
    .language_version:
      - 2
      - 0
    .max_flat_workgroup_size: 1024
    .name:           _ZN2at6native12_GLOBAL__N_139avg_pool2d_backward_out_cuda_frame_nhwcIfflEEvT1_PKT_llliiiiiiiiPS4_ibb
    .private_segment_fixed_size: 0
    .sgpr_count:     62
    .sgpr_spill_count: 0
    .symbol:         _ZN2at6native12_GLOBAL__N_139avg_pool2d_backward_out_cuda_frame_nhwcIfflEEvT1_PKT_llliiiiiiiiPS4_ibb.kd
    .uniform_work_group_size: 1
    .uses_dynamic_stack: false
    .vgpr_count:     29
    .vgpr_spill_count: 0
    .wavefront_size: 64
  - .args:
      - .offset:         0
        .size:           8
        .value_kind:     by_value
      - .address_space:  global
        .offset:         8
        .size:           8
        .value_kind:     global_buffer
      - .offset:         16
        .size:           8
        .value_kind:     by_value
      - .offset:         24
        .size:           8
        .value_kind:     by_value
      - .offset:         32
        .size:           8
        .value_kind:     by_value
      - .offset:         40
        .size:           8
        .value_kind:     by_value
      - .offset:         48
        .size:           8
        .value_kind:     by_value
      - .offset:         56
        .size:           4
        .value_kind:     by_value
      - .offset:         60
        .size:           4
        .value_kind:     by_value
      - .offset:         64
        .size:           4
        .value_kind:     by_value
      - .offset:         68
        .size:           4
        .value_kind:     by_value
      - .offset:         72
        .size:           4
        .value_kind:     by_value
      - .offset:         76
        .size:           4
        .value_kind:     by_value
      - .address_space:  global
        .offset:         80
        .size:           8
        .value_kind:     global_buffer
      - .offset:         88
        .size:           4
        .value_kind:     by_value
      - .offset:         92
        .size:           1
        .value_kind:     by_value
      - .offset:         93
        .size:           1
        .value_kind:     by_value
      - .offset:         96
        .size:           4
        .value_kind:     hidden_block_count_x
      - .offset:         100
        .size:           4
        .value_kind:     hidden_block_count_y
      - .offset:         104
        .size:           4
        .value_kind:     hidden_block_count_z
      - .offset:         108
        .size:           2
        .value_kind:     hidden_group_size_x
      - .offset:         110
        .size:           2
        .value_kind:     hidden_group_size_y
      - .offset:         112
        .size:           2
        .value_kind:     hidden_group_size_z
      - .offset:         114
        .size:           2
        .value_kind:     hidden_remainder_x
      - .offset:         116
        .size:           2
        .value_kind:     hidden_remainder_y
      - .offset:         118
        .size:           2
        .value_kind:     hidden_remainder_z
      - .offset:         136
        .size:           8
        .value_kind:     hidden_global_offset_x
      - .offset:         144
        .size:           8
        .value_kind:     hidden_global_offset_y
      - .offset:         152
        .size:           8
        .value_kind:     hidden_global_offset_z
      - .offset:         160
        .size:           2
        .value_kind:     hidden_grid_dims
    .group_segment_fixed_size: 0
    .kernarg_segment_align: 8
    .kernarg_segment_size: 352
    .language:       OpenCL C
    .language_version:
      - 2
      - 0
    .max_flat_workgroup_size: 1024
    .name:           _ZN2at6native12_GLOBAL__N_134avg_pool2d_backward_out_cuda_frameIfflEEvT1_PKT_llllliiiiiiPS4_ibb
    .private_segment_fixed_size: 0
    .sgpr_count:     64
    .sgpr_spill_count: 0
    .symbol:         _ZN2at6native12_GLOBAL__N_134avg_pool2d_backward_out_cuda_frameIfflEEvT1_PKT_llllliiiiiiPS4_ibb.kd
    .uniform_work_group_size: 1
    .uses_dynamic_stack: false
    .vgpr_count:     30
    .vgpr_spill_count: 0
    .wavefront_size: 64
  - .args:
      - .offset:         0
        .size:           4
        .value_kind:     by_value
      - .address_space:  global
        .offset:         8
        .size:           8
        .value_kind:     global_buffer
      - .offset:         16
        .size:           8
        .value_kind:     by_value
      - .offset:         24
        .size:           8
        .value_kind:     by_value
      - .offset:         32
        .size:           8
        .value_kind:     by_value
      - .offset:         40
        .size:           4
        .value_kind:     by_value
      - .offset:         44
        .size:           4
        .value_kind:     by_value
      - .offset:         48
        .size:           4
        .value_kind:     by_value
      - .offset:         52
        .size:           4
        .value_kind:     by_value
      - .offset:         56
        .size:           4
        .value_kind:     by_value
      - .offset:         60
        .size:           4
        .value_kind:     by_value
      - .offset:         64
        .size:           4
        .value_kind:     by_value
      - .offset:         68
        .size:           4
        .value_kind:     by_value
      - .address_space:  global
        .offset:         72
        .size:           8
        .value_kind:     global_buffer
      - .offset:         80
        .size:           4
        .value_kind:     by_value
      - .offset:         84
        .size:           1
        .value_kind:     by_value
      - .offset:         85
        .size:           1
        .value_kind:     by_value
      - .offset:         88
        .size:           4
        .value_kind:     hidden_block_count_x
      - .offset:         92
        .size:           4
        .value_kind:     hidden_block_count_y
      - .offset:         96
        .size:           4
        .value_kind:     hidden_block_count_z
      - .offset:         100
        .size:           2
        .value_kind:     hidden_group_size_x
      - .offset:         102
        .size:           2
        .value_kind:     hidden_group_size_y
      - .offset:         104
        .size:           2
        .value_kind:     hidden_group_size_z
      - .offset:         106
        .size:           2
        .value_kind:     hidden_remainder_x
      - .offset:         108
        .size:           2
        .value_kind:     hidden_remainder_y
      - .offset:         110
        .size:           2
        .value_kind:     hidden_remainder_z
      - .offset:         128
        .size:           8
        .value_kind:     hidden_global_offset_x
      - .offset:         136
        .size:           8
        .value_kind:     hidden_global_offset_y
      - .offset:         144
        .size:           8
        .value_kind:     hidden_global_offset_z
      - .offset:         152
        .size:           2
        .value_kind:     hidden_grid_dims
    .group_segment_fixed_size: 0
    .kernarg_segment_align: 8
    .kernarg_segment_size: 344
    .language:       OpenCL C
    .language_version:
      - 2
      - 0
    .max_flat_workgroup_size: 1024
    .name:           _ZN2at6native12_GLOBAL__N_139avg_pool2d_backward_out_cuda_frame_nhwcIN3c104HalfEfiEEvT1_PKT_llliiiiiiiiPS6_ibb
    .private_segment_fixed_size: 0
    .sgpr_count:     59
    .sgpr_spill_count: 0
    .symbol:         _ZN2at6native12_GLOBAL__N_139avg_pool2d_backward_out_cuda_frame_nhwcIN3c104HalfEfiEEvT1_PKT_llliiiiiiiiPS6_ibb.kd
    .uniform_work_group_size: 1
    .uses_dynamic_stack: false
    .vgpr_count:     29
    .vgpr_spill_count: 0
    .wavefront_size: 64
  - .args:
      - .offset:         0
        .size:           4
        .value_kind:     by_value
      - .address_space:  global
        .offset:         8
        .size:           8
        .value_kind:     global_buffer
      - .offset:         16
        .size:           8
        .value_kind:     by_value
      - .offset:         24
        .size:           8
        .value_kind:     by_value
      - .offset:         32
        .size:           8
        .value_kind:     by_value
      - .offset:         40
        .size:           8
        .value_kind:     by_value
      - .offset:         48
        .size:           8
        .value_kind:     by_value
      - .offset:         56
        .size:           4
        .value_kind:     by_value
      - .offset:         60
        .size:           4
        .value_kind:     by_value
      - .offset:         64
        .size:           4
        .value_kind:     by_value
      - .offset:         68
        .size:           4
        .value_kind:     by_value
      - .offset:         72
        .size:           4
        .value_kind:     by_value
      - .offset:         76
        .size:           4
        .value_kind:     by_value
      - .address_space:  global
        .offset:         80
        .size:           8
        .value_kind:     global_buffer
      - .offset:         88
        .size:           4
        .value_kind:     by_value
      - .offset:         92
        .size:           1
        .value_kind:     by_value
      - .offset:         93
        .size:           1
        .value_kind:     by_value
      - .offset:         96
        .size:           4
        .value_kind:     hidden_block_count_x
      - .offset:         100
        .size:           4
        .value_kind:     hidden_block_count_y
      - .offset:         104
        .size:           4
        .value_kind:     hidden_block_count_z
      - .offset:         108
        .size:           2
        .value_kind:     hidden_group_size_x
      - .offset:         110
        .size:           2
        .value_kind:     hidden_group_size_y
      - .offset:         112
        .size:           2
        .value_kind:     hidden_group_size_z
      - .offset:         114
        .size:           2
        .value_kind:     hidden_remainder_x
      - .offset:         116
        .size:           2
        .value_kind:     hidden_remainder_y
      - .offset:         118
        .size:           2
        .value_kind:     hidden_remainder_z
      - .offset:         136
        .size:           8
        .value_kind:     hidden_global_offset_x
      - .offset:         144
        .size:           8
        .value_kind:     hidden_global_offset_y
      - .offset:         152
        .size:           8
        .value_kind:     hidden_global_offset_z
      - .offset:         160
        .size:           2
        .value_kind:     hidden_grid_dims
    .group_segment_fixed_size: 0
    .kernarg_segment_align: 8
    .kernarg_segment_size: 352
    .language:       OpenCL C
    .language_version:
      - 2
      - 0
    .max_flat_workgroup_size: 1024
    .name:           _ZN2at6native12_GLOBAL__N_134avg_pool2d_backward_out_cuda_frameIN3c104HalfEfiEEvT1_PKT_llllliiiiiiPS6_ibb
    .private_segment_fixed_size: 0
    .sgpr_count:     60
    .sgpr_spill_count: 0
    .symbol:         _ZN2at6native12_GLOBAL__N_134avg_pool2d_backward_out_cuda_frameIN3c104HalfEfiEEvT1_PKT_llllliiiiiiPS6_ibb.kd
    .uniform_work_group_size: 1
    .uses_dynamic_stack: false
    .vgpr_count:     30
    .vgpr_spill_count: 0
    .wavefront_size: 64
  - .args:
      - .offset:         0
        .size:           8
        .value_kind:     by_value
      - .address_space:  global
        .offset:         8
        .size:           8
        .value_kind:     global_buffer
      - .offset:         16
        .size:           8
        .value_kind:     by_value
      - .offset:         24
        .size:           8
        .value_kind:     by_value
      - .offset:         32
        .size:           8
        .value_kind:     by_value
      - .offset:         40
        .size:           4
        .value_kind:     by_value
      - .offset:         44
        .size:           4
        .value_kind:     by_value
      - .offset:         48
        .size:           4
        .value_kind:     by_value
      - .offset:         52
        .size:           4
        .value_kind:     by_value
      - .offset:         56
        .size:           4
        .value_kind:     by_value
      - .offset:         60
        .size:           4
        .value_kind:     by_value
      - .offset:         64
        .size:           4
        .value_kind:     by_value
      - .offset:         68
        .size:           4
        .value_kind:     by_value
      - .address_space:  global
        .offset:         72
        .size:           8
        .value_kind:     global_buffer
      - .offset:         80
        .size:           4
        .value_kind:     by_value
      - .offset:         84
        .size:           1
        .value_kind:     by_value
      - .offset:         85
        .size:           1
        .value_kind:     by_value
      - .offset:         88
        .size:           4
        .value_kind:     hidden_block_count_x
      - .offset:         92
        .size:           4
        .value_kind:     hidden_block_count_y
      - .offset:         96
        .size:           4
        .value_kind:     hidden_block_count_z
      - .offset:         100
        .size:           2
        .value_kind:     hidden_group_size_x
      - .offset:         102
        .size:           2
        .value_kind:     hidden_group_size_y
      - .offset:         104
        .size:           2
        .value_kind:     hidden_group_size_z
      - .offset:         106
        .size:           2
        .value_kind:     hidden_remainder_x
      - .offset:         108
        .size:           2
        .value_kind:     hidden_remainder_y
      - .offset:         110
        .size:           2
        .value_kind:     hidden_remainder_z
      - .offset:         128
        .size:           8
        .value_kind:     hidden_global_offset_x
      - .offset:         136
        .size:           8
        .value_kind:     hidden_global_offset_y
      - .offset:         144
        .size:           8
        .value_kind:     hidden_global_offset_z
      - .offset:         152
        .size:           2
        .value_kind:     hidden_grid_dims
    .group_segment_fixed_size: 0
    .kernarg_segment_align: 8
    .kernarg_segment_size: 344
    .language:       OpenCL C
    .language_version:
      - 2
      - 0
    .max_flat_workgroup_size: 1024
    .name:           _ZN2at6native12_GLOBAL__N_139avg_pool2d_backward_out_cuda_frame_nhwcIN3c104HalfEflEEvT1_PKT_llliiiiiiiiPS6_ibb
    .private_segment_fixed_size: 0
    .sgpr_count:     59
    .sgpr_spill_count: 0
    .symbol:         _ZN2at6native12_GLOBAL__N_139avg_pool2d_backward_out_cuda_frame_nhwcIN3c104HalfEflEEvT1_PKT_llliiiiiiiiPS6_ibb.kd
    .uniform_work_group_size: 1
    .uses_dynamic_stack: false
    .vgpr_count:     29
    .vgpr_spill_count: 0
    .wavefront_size: 64
  - .args:
      - .offset:         0
        .size:           8
        .value_kind:     by_value
      - .address_space:  global
        .offset:         8
        .size:           8
        .value_kind:     global_buffer
      - .offset:         16
        .size:           8
        .value_kind:     by_value
      - .offset:         24
        .size:           8
        .value_kind:     by_value
      - .offset:         32
        .size:           8
        .value_kind:     by_value
      - .offset:         40
        .size:           8
        .value_kind:     by_value
      - .offset:         48
        .size:           8
        .value_kind:     by_value
      - .offset:         56
        .size:           4
        .value_kind:     by_value
      - .offset:         60
        .size:           4
        .value_kind:     by_value
      - .offset:         64
        .size:           4
        .value_kind:     by_value
      - .offset:         68
        .size:           4
        .value_kind:     by_value
      - .offset:         72
        .size:           4
        .value_kind:     by_value
      - .offset:         76
        .size:           4
        .value_kind:     by_value
      - .address_space:  global
        .offset:         80
        .size:           8
        .value_kind:     global_buffer
      - .offset:         88
        .size:           4
        .value_kind:     by_value
      - .offset:         92
        .size:           1
        .value_kind:     by_value
      - .offset:         93
        .size:           1
        .value_kind:     by_value
      - .offset:         96
        .size:           4
        .value_kind:     hidden_block_count_x
      - .offset:         100
        .size:           4
        .value_kind:     hidden_block_count_y
      - .offset:         104
        .size:           4
        .value_kind:     hidden_block_count_z
      - .offset:         108
        .size:           2
        .value_kind:     hidden_group_size_x
      - .offset:         110
        .size:           2
        .value_kind:     hidden_group_size_y
      - .offset:         112
        .size:           2
        .value_kind:     hidden_group_size_z
      - .offset:         114
        .size:           2
        .value_kind:     hidden_remainder_x
      - .offset:         116
        .size:           2
        .value_kind:     hidden_remainder_y
      - .offset:         118
        .size:           2
        .value_kind:     hidden_remainder_z
      - .offset:         136
        .size:           8
        .value_kind:     hidden_global_offset_x
      - .offset:         144
        .size:           8
        .value_kind:     hidden_global_offset_y
      - .offset:         152
        .size:           8
        .value_kind:     hidden_global_offset_z
      - .offset:         160
        .size:           2
        .value_kind:     hidden_grid_dims
    .group_segment_fixed_size: 0
    .kernarg_segment_align: 8
    .kernarg_segment_size: 352
    .language:       OpenCL C
    .language_version:
      - 2
      - 0
    .max_flat_workgroup_size: 1024
    .name:           _ZN2at6native12_GLOBAL__N_134avg_pool2d_backward_out_cuda_frameIN3c104HalfEflEEvT1_PKT_llllliiiiiiPS6_ibb
    .private_segment_fixed_size: 0
    .sgpr_count:     62
    .sgpr_spill_count: 0
    .symbol:         _ZN2at6native12_GLOBAL__N_134avg_pool2d_backward_out_cuda_frameIN3c104HalfEflEEvT1_PKT_llllliiiiiiPS6_ibb.kd
    .uniform_work_group_size: 1
    .uses_dynamic_stack: false
    .vgpr_count:     30
    .vgpr_spill_count: 0
    .wavefront_size: 64
  - .args:
      - .offset:         0
        .size:           4
        .value_kind:     by_value
      - .address_space:  global
        .offset:         8
        .size:           8
        .value_kind:     global_buffer
      - .offset:         16
        .size:           8
        .value_kind:     by_value
      - .offset:         24
        .size:           8
        .value_kind:     by_value
      - .offset:         32
        .size:           8
        .value_kind:     by_value
      - .offset:         40
        .size:           4
        .value_kind:     by_value
      - .offset:         44
        .size:           4
        .value_kind:     by_value
      - .offset:         48
        .size:           4
        .value_kind:     by_value
      - .offset:         52
        .size:           4
        .value_kind:     by_value
      - .offset:         56
        .size:           4
        .value_kind:     by_value
      - .offset:         60
        .size:           4
        .value_kind:     by_value
      - .offset:         64
        .size:           4
        .value_kind:     by_value
      - .offset:         68
        .size:           4
        .value_kind:     by_value
      - .address_space:  global
        .offset:         72
        .size:           8
        .value_kind:     global_buffer
      - .offset:         80
        .size:           4
        .value_kind:     by_value
      - .offset:         84
        .size:           1
        .value_kind:     by_value
      - .offset:         85
        .size:           1
        .value_kind:     by_value
      - .offset:         88
        .size:           4
        .value_kind:     hidden_block_count_x
      - .offset:         92
        .size:           4
        .value_kind:     hidden_block_count_y
      - .offset:         96
        .size:           4
        .value_kind:     hidden_block_count_z
      - .offset:         100
        .size:           2
        .value_kind:     hidden_group_size_x
      - .offset:         102
        .size:           2
        .value_kind:     hidden_group_size_y
      - .offset:         104
        .size:           2
        .value_kind:     hidden_group_size_z
      - .offset:         106
        .size:           2
        .value_kind:     hidden_remainder_x
      - .offset:         108
        .size:           2
        .value_kind:     hidden_remainder_y
      - .offset:         110
        .size:           2
        .value_kind:     hidden_remainder_z
      - .offset:         128
        .size:           8
        .value_kind:     hidden_global_offset_x
      - .offset:         136
        .size:           8
        .value_kind:     hidden_global_offset_y
      - .offset:         144
        .size:           8
        .value_kind:     hidden_global_offset_z
      - .offset:         152
        .size:           2
        .value_kind:     hidden_grid_dims
    .group_segment_fixed_size: 0
    .kernarg_segment_align: 8
    .kernarg_segment_size: 344
    .language:       OpenCL C
    .language_version:
      - 2
      - 0
    .max_flat_workgroup_size: 1024
    .name:           _ZN2at6native12_GLOBAL__N_139avg_pool2d_backward_out_cuda_frame_nhwcIN3c108BFloat16EfiEEvT1_PKT_llliiiiiiiiPS6_ibb
    .private_segment_fixed_size: 0
    .sgpr_count:     62
    .sgpr_spill_count: 0
    .symbol:         _ZN2at6native12_GLOBAL__N_139avg_pool2d_backward_out_cuda_frame_nhwcIN3c108BFloat16EfiEEvT1_PKT_llliiiiiiiiPS6_ibb.kd
    .uniform_work_group_size: 1
    .uses_dynamic_stack: false
    .vgpr_count:     31
    .vgpr_spill_count: 0
    .wavefront_size: 64
  - .args:
      - .offset:         0
        .size:           4
        .value_kind:     by_value
      - .address_space:  global
        .offset:         8
        .size:           8
        .value_kind:     global_buffer
      - .offset:         16
        .size:           8
        .value_kind:     by_value
      - .offset:         24
        .size:           8
        .value_kind:     by_value
      - .offset:         32
        .size:           8
        .value_kind:     by_value
      - .offset:         40
        .size:           8
        .value_kind:     by_value
      - .offset:         48
        .size:           8
        .value_kind:     by_value
      - .offset:         56
        .size:           4
        .value_kind:     by_value
      - .offset:         60
        .size:           4
        .value_kind:     by_value
      - .offset:         64
        .size:           4
        .value_kind:     by_value
      - .offset:         68
        .size:           4
        .value_kind:     by_value
      - .offset:         72
        .size:           4
        .value_kind:     by_value
      - .offset:         76
        .size:           4
        .value_kind:     by_value
      - .address_space:  global
        .offset:         80
        .size:           8
        .value_kind:     global_buffer
      - .offset:         88
        .size:           4
        .value_kind:     by_value
      - .offset:         92
        .size:           1
        .value_kind:     by_value
      - .offset:         93
        .size:           1
        .value_kind:     by_value
      - .offset:         96
        .size:           4
        .value_kind:     hidden_block_count_x
      - .offset:         100
        .size:           4
        .value_kind:     hidden_block_count_y
      - .offset:         104
        .size:           4
        .value_kind:     hidden_block_count_z
      - .offset:         108
        .size:           2
        .value_kind:     hidden_group_size_x
      - .offset:         110
        .size:           2
        .value_kind:     hidden_group_size_y
      - .offset:         112
        .size:           2
        .value_kind:     hidden_group_size_z
      - .offset:         114
        .size:           2
        .value_kind:     hidden_remainder_x
      - .offset:         116
        .size:           2
        .value_kind:     hidden_remainder_y
      - .offset:         118
        .size:           2
        .value_kind:     hidden_remainder_z
      - .offset:         136
        .size:           8
        .value_kind:     hidden_global_offset_x
      - .offset:         144
        .size:           8
        .value_kind:     hidden_global_offset_y
      - .offset:         152
        .size:           8
        .value_kind:     hidden_global_offset_z
      - .offset:         160
        .size:           2
        .value_kind:     hidden_grid_dims
    .group_segment_fixed_size: 0
    .kernarg_segment_align: 8
    .kernarg_segment_size: 352
    .language:       OpenCL C
    .language_version:
      - 2
      - 0
    .max_flat_workgroup_size: 1024
    .name:           _ZN2at6native12_GLOBAL__N_134avg_pool2d_backward_out_cuda_frameIN3c108BFloat16EfiEEvT1_PKT_llllliiiiiiPS6_ibb
    .private_segment_fixed_size: 0
    .sgpr_count:     64
    .sgpr_spill_count: 0
    .symbol:         _ZN2at6native12_GLOBAL__N_134avg_pool2d_backward_out_cuda_frameIN3c108BFloat16EfiEEvT1_PKT_llllliiiiiiPS6_ibb.kd
    .uniform_work_group_size: 1
    .uses_dynamic_stack: false
    .vgpr_count:     32
    .vgpr_spill_count: 0
    .wavefront_size: 64
  - .args:
      - .offset:         0
        .size:           8
        .value_kind:     by_value
      - .address_space:  global
        .offset:         8
        .size:           8
        .value_kind:     global_buffer
      - .offset:         16
        .size:           8
        .value_kind:     by_value
      - .offset:         24
        .size:           8
        .value_kind:     by_value
      - .offset:         32
        .size:           8
        .value_kind:     by_value
      - .offset:         40
        .size:           4
        .value_kind:     by_value
      - .offset:         44
        .size:           4
        .value_kind:     by_value
      - .offset:         48
        .size:           4
        .value_kind:     by_value
      - .offset:         52
        .size:           4
        .value_kind:     by_value
      - .offset:         56
        .size:           4
        .value_kind:     by_value
      - .offset:         60
        .size:           4
        .value_kind:     by_value
      - .offset:         64
        .size:           4
        .value_kind:     by_value
      - .offset:         68
        .size:           4
        .value_kind:     by_value
      - .address_space:  global
        .offset:         72
        .size:           8
        .value_kind:     global_buffer
      - .offset:         80
        .size:           4
        .value_kind:     by_value
      - .offset:         84
        .size:           1
        .value_kind:     by_value
      - .offset:         85
        .size:           1
        .value_kind:     by_value
      - .offset:         88
        .size:           4
        .value_kind:     hidden_block_count_x
      - .offset:         92
        .size:           4
        .value_kind:     hidden_block_count_y
      - .offset:         96
        .size:           4
        .value_kind:     hidden_block_count_z
      - .offset:         100
        .size:           2
        .value_kind:     hidden_group_size_x
      - .offset:         102
        .size:           2
        .value_kind:     hidden_group_size_y
      - .offset:         104
        .size:           2
        .value_kind:     hidden_group_size_z
      - .offset:         106
        .size:           2
        .value_kind:     hidden_remainder_x
      - .offset:         108
        .size:           2
        .value_kind:     hidden_remainder_y
      - .offset:         110
        .size:           2
        .value_kind:     hidden_remainder_z
      - .offset:         128
        .size:           8
        .value_kind:     hidden_global_offset_x
      - .offset:         136
        .size:           8
        .value_kind:     hidden_global_offset_y
      - .offset:         144
        .size:           8
        .value_kind:     hidden_global_offset_z
      - .offset:         152
        .size:           2
        .value_kind:     hidden_grid_dims
    .group_segment_fixed_size: 0
    .kernarg_segment_align: 8
    .kernarg_segment_size: 344
    .language:       OpenCL C
    .language_version:
      - 2
      - 0
    .max_flat_workgroup_size: 1024
    .name:           _ZN2at6native12_GLOBAL__N_139avg_pool2d_backward_out_cuda_frame_nhwcIN3c108BFloat16EflEEvT1_PKT_llliiiiiiiiPS6_ibb
    .private_segment_fixed_size: 0
    .sgpr_count:     62
    .sgpr_spill_count: 0
    .symbol:         _ZN2at6native12_GLOBAL__N_139avg_pool2d_backward_out_cuda_frame_nhwcIN3c108BFloat16EflEEvT1_PKT_llliiiiiiiiPS6_ibb.kd
    .uniform_work_group_size: 1
    .uses_dynamic_stack: false
    .vgpr_count:     31
    .vgpr_spill_count: 0
    .wavefront_size: 64
  - .args:
      - .offset:         0
        .size:           8
        .value_kind:     by_value
      - .address_space:  global
        .offset:         8
        .size:           8
        .value_kind:     global_buffer
      - .offset:         16
        .size:           8
        .value_kind:     by_value
      - .offset:         24
        .size:           8
        .value_kind:     by_value
      - .offset:         32
        .size:           8
        .value_kind:     by_value
      - .offset:         40
        .size:           8
        .value_kind:     by_value
      - .offset:         48
        .size:           8
        .value_kind:     by_value
      - .offset:         56
        .size:           4
        .value_kind:     by_value
      - .offset:         60
        .size:           4
        .value_kind:     by_value
      - .offset:         64
        .size:           4
        .value_kind:     by_value
      - .offset:         68
        .size:           4
        .value_kind:     by_value
      - .offset:         72
        .size:           4
        .value_kind:     by_value
      - .offset:         76
        .size:           4
        .value_kind:     by_value
      - .address_space:  global
        .offset:         80
        .size:           8
        .value_kind:     global_buffer
      - .offset:         88
        .size:           4
        .value_kind:     by_value
      - .offset:         92
        .size:           1
        .value_kind:     by_value
      - .offset:         93
        .size:           1
        .value_kind:     by_value
      - .offset:         96
        .size:           4
        .value_kind:     hidden_block_count_x
      - .offset:         100
        .size:           4
        .value_kind:     hidden_block_count_y
      - .offset:         104
        .size:           4
        .value_kind:     hidden_block_count_z
      - .offset:         108
        .size:           2
        .value_kind:     hidden_group_size_x
      - .offset:         110
        .size:           2
        .value_kind:     hidden_group_size_y
      - .offset:         112
        .size:           2
        .value_kind:     hidden_group_size_z
      - .offset:         114
        .size:           2
        .value_kind:     hidden_remainder_x
      - .offset:         116
        .size:           2
        .value_kind:     hidden_remainder_y
      - .offset:         118
        .size:           2
        .value_kind:     hidden_remainder_z
      - .offset:         136
        .size:           8
        .value_kind:     hidden_global_offset_x
      - .offset:         144
        .size:           8
        .value_kind:     hidden_global_offset_y
      - .offset:         152
        .size:           8
        .value_kind:     hidden_global_offset_z
      - .offset:         160
        .size:           2
        .value_kind:     hidden_grid_dims
    .group_segment_fixed_size: 0
    .kernarg_segment_align: 8
    .kernarg_segment_size: 352
    .language:       OpenCL C
    .language_version:
      - 2
      - 0
    .max_flat_workgroup_size: 1024
    .name:           _ZN2at6native12_GLOBAL__N_134avg_pool2d_backward_out_cuda_frameIN3c108BFloat16EflEEvT1_PKT_llllliiiiiiPS6_ibb
    .private_segment_fixed_size: 0
    .sgpr_count:     66
    .sgpr_spill_count: 0
    .symbol:         _ZN2at6native12_GLOBAL__N_134avg_pool2d_backward_out_cuda_frameIN3c108BFloat16EflEEvT1_PKT_llllliiiiiiPS6_ibb.kd
    .uniform_work_group_size: 1
    .uses_dynamic_stack: false
    .vgpr_count:     32
    .vgpr_spill_count: 0
    .wavefront_size: 64
amdhsa.target:   amdgcn-amd-amdhsa--gfx906
amdhsa.version:
  - 1
  - 2
...

	.end_amdgpu_metadata
